;; amdgpu-corpus repo=ROCm/rccl kind=compiled arch=gfx90a opt=O3
	.text
	.amdgcn_target "amdgcn-amd-amdhsa--gfx90a"
	.amdhsa_code_object_version 6
	.protected	_Z18initTestDataKernelPfmi ; -- Begin function _Z18initTestDataKernelPfmi
	.globl	_Z18initTestDataKernelPfmi
	.p2align	8
	.type	_Z18initTestDataKernelPfmi,@function
_Z18initTestDataKernelPfmi:             ; @_Z18initTestDataKernelPfmi
; %bb.0:
	s_load_dword s7, s[4:5], 0x24
	s_load_dwordx4 s[0:3], s[4:5], 0x0
	s_add_u32 s8, s4, 24
	s_addc_u32 s9, s5, 0
	s_waitcnt lgkmcnt(0)
	s_and_b32 s10, s7, 0xffff
	s_mul_i32 s7, s6, s10
	v_add_u32_e32 v2, s7, v0
	v_ashrrev_i32_e32 v3, 31, v2
	v_cmp_gt_u64_e32 vcc, s[2:3], v[2:3]
	s_and_saveexec_b64 s[12:13], vcc
	s_cbranch_execz .LBB0_3
; %bb.1:
	s_load_dword s11, s[4:5], 0x10
	s_load_dword s12, s[8:9], 0x0
	s_mov_b64 s[4:5], 0
	v_mov_b32_e32 v1, s1
	s_waitcnt lgkmcnt(0)
	s_mul_i32 s8, s11, 17
	s_add_i32 s6, s6, s12
	s_mul_i32 s9, s12, s10
	s_mul_i32 s6, s6, s10
	s_mov_b32 s10, 0x3531dec1
	s_movk_i32 s11, 0x4d
.LBB0_2:                                ; =>This Inner Loop Header: Depth=1
	v_add_u32_e32 v6, s7, v0
	v_mul_hi_i32 v7, v6, s10
	v_lshrrev_b32_e32 v8, 31, v7
	v_ashrrev_i32_e32 v7, 4, v7
	v_add_u32_e32 v7, v7, v8
	v_mul_lo_u32 v7, v7, s11
	v_sub_u32_e32 v6, v6, v7
	v_add_u32_e32 v6, s8, v6
	v_cvt_f32_i32_e32 v6, v6
	v_lshlrev_b64 v[4:5], 2, v[2:3]
	v_add_u32_e32 v2, s6, v0
	v_add_co_u32_e32 v4, vcc, s0, v4
	v_div_scale_f32 v7, s[12:13], v6, v6, 1.0
	v_rcp_f32_e32 v8, v7
	v_addc_co_u32_e32 v5, vcc, v1, v5, vcc
	v_ashrrev_i32_e32 v3, 31, v2
	v_cmp_le_u64_e32 vcc, s[2:3], v[2:3]
	v_fma_f32 v10, -v7, v8, 1.0
	s_or_b64 s[4:5], vcc, s[4:5]
	v_div_scale_f32 v9, vcc, 1.0, v6, 1.0
	v_fmac_f32_e32 v8, v10, v8
	v_mul_f32_e32 v10, v9, v8
	v_fma_f32 v11, -v7, v10, v9
	v_fmac_f32_e32 v10, v11, v8
	v_fma_f32 v7, -v7, v10, v9
	v_div_fmas_f32 v7, v7, v8, v10
	v_add_u32_e32 v0, s9, v0
	v_div_fixup_f32 v6, v7, v6, 1.0
	global_store_dword v[4:5], v6, off
	s_andn2_b64 exec, exec, s[4:5]
	s_cbranch_execnz .LBB0_2
.LBB0_3:
	s_endpgm
	.section	.rodata,"a",@progbits
	.p2align	6, 0x0
	.amdhsa_kernel _Z18initTestDataKernelPfmi
		.amdhsa_group_segment_fixed_size 0
		.amdhsa_private_segment_fixed_size 0
		.amdhsa_kernarg_size 280
		.amdhsa_user_sgpr_count 6
		.amdhsa_user_sgpr_private_segment_buffer 1
		.amdhsa_user_sgpr_dispatch_ptr 0
		.amdhsa_user_sgpr_queue_ptr 0
		.amdhsa_user_sgpr_kernarg_segment_ptr 1
		.amdhsa_user_sgpr_dispatch_id 0
		.amdhsa_user_sgpr_flat_scratch_init 0
		.amdhsa_user_sgpr_kernarg_preload_length 0
		.amdhsa_user_sgpr_kernarg_preload_offset 0
		.amdhsa_user_sgpr_private_segment_size 0
		.amdhsa_uses_dynamic_stack 0
		.amdhsa_system_sgpr_private_segment_wavefront_offset 0
		.amdhsa_system_sgpr_workgroup_id_x 1
		.amdhsa_system_sgpr_workgroup_id_y 0
		.amdhsa_system_sgpr_workgroup_id_z 0
		.amdhsa_system_sgpr_workgroup_info 0
		.amdhsa_system_vgpr_workitem_id 0
		.amdhsa_next_free_vgpr 12
		.amdhsa_next_free_sgpr 14
		.amdhsa_accum_offset 12
		.amdhsa_reserve_vcc 1
		.amdhsa_reserve_flat_scratch 0
		.amdhsa_float_round_mode_32 0
		.amdhsa_float_round_mode_16_64 0
		.amdhsa_float_denorm_mode_32 3
		.amdhsa_float_denorm_mode_16_64 3
		.amdhsa_dx10_clamp 1
		.amdhsa_ieee_mode 1
		.amdhsa_fp16_overflow 0
		.amdhsa_tg_split 0
		.amdhsa_exception_fp_ieee_invalid_op 0
		.amdhsa_exception_fp_denorm_src 0
		.amdhsa_exception_fp_ieee_div_zero 0
		.amdhsa_exception_fp_ieee_overflow 0
		.amdhsa_exception_fp_ieee_underflow 0
		.amdhsa_exception_fp_ieee_inexact 0
		.amdhsa_exception_int_div_zero 0
	.end_amdhsa_kernel
	.text
.Lfunc_end0:
	.size	_Z18initTestDataKernelPfmi, .Lfunc_end0-_Z18initTestDataKernelPfmi
                                        ; -- End function
	.section	.AMDGPU.csdata,"",@progbits
; Kernel info:
; codeLenInByte = 288
; NumSgprs: 18
; NumVgprs: 12
; NumAgprs: 0
; TotalNumVgprs: 12
; ScratchSize: 0
; MemoryBound: 0
; FloatMode: 240
; IeeeMode: 1
; LDSByteSize: 0 bytes/workgroup (compile time only)
; SGPRBlocks: 2
; VGPRBlocks: 1
; NumSGPRsForWavesPerEU: 18
; NumVGPRsForWavesPerEU: 12
; AccumOffset: 12
; Occupancy: 8
; WaveLimiterHint : 0
; COMPUTE_PGM_RSRC2:SCRATCH_EN: 0
; COMPUTE_PGM_RSRC2:USER_SGPR: 6
; COMPUTE_PGM_RSRC2:TRAP_HANDLER: 0
; COMPUTE_PGM_RSRC2:TGID_X_EN: 1
; COMPUTE_PGM_RSRC2:TGID_Y_EN: 0
; COMPUTE_PGM_RSRC2:TGID_Z_EN: 0
; COMPUTE_PGM_RSRC2:TIDIG_COMP_CNT: 0
; COMPUTE_PGM_RSRC3_GFX90A:ACCUM_OFFSET: 2
; COMPUTE_PGM_RSRC3_GFX90A:TG_SPLIT: 0
	.section	.text._Z16flag_sync_kernelILi0ELi0EEvP15transfer_data_tP16profiling_data_tm,"axG",@progbits,_Z16flag_sync_kernelILi0ELi0EEvP15transfer_data_tP16profiling_data_tm,comdat
	.protected	_Z16flag_sync_kernelILi0ELi0EEvP15transfer_data_tP16profiling_data_tm ; -- Begin function _Z16flag_sync_kernelILi0ELi0EEvP15transfer_data_tP16profiling_data_tm
	.globl	_Z16flag_sync_kernelILi0ELi0EEvP15transfer_data_tP16profiling_data_tm
	.p2align	8
	.type	_Z16flag_sync_kernelILi0ELi0EEvP15transfer_data_tP16profiling_data_tm,@function
_Z16flag_sync_kernelILi0ELi0EEvP15transfer_data_tP16profiling_data_tm: ; @_Z16flag_sync_kernelILi0ELi0EEvP15transfer_data_tP16profiling_data_tm
; %bb.0:
	s_load_dwordx4 s[8:11], s[4:5], 0x0
	v_cmp_eq_u32_e64 s[0:1], 0, v0
	s_waitcnt lgkmcnt(0)
	s_load_dword s14, s[8:9], 0x8c0
	s_and_saveexec_b64 s[2:3], s[0:1]
	s_cbranch_execz .LBB1_3
; %bb.1:
	s_mov_b64 s[4:5], exec
	v_mbcnt_lo_u32_b32 v1, s4, 0
	v_mbcnt_hi_u32_b32 v1, s5, v1
	v_cmp_eq_u32_e32 vcc, 0, v1
	s_and_b64 s[12:13], exec, vcc
	s_mov_b64 exec, s[12:13]
	s_cbranch_execz .LBB1_3
; %bb.2:
	s_load_dword s12, s[8:9], 0x8c4
	s_load_dwordx2 s[16:17], s[8:9], 0x8d0
	v_mov_b32_e32 v3, 0
	s_waitcnt lgkmcnt(0)
	s_ashr_i32 s13, s12, 31
	s_lshl_b64 s[12:13], s[12:13], 3
	s_add_u32 s12, s16, s12
	s_addc_u32 s13, s17, s13
	s_bcnt1_i32_b64 s4, s[4:5]
	v_mov_b32_e32 v2, s4
	buffer_wbl2
	global_atomic_add_x2 v3, v[2:3], s[12:13]
	s_waitcnt vmcnt(0)
	buffer_invl2
	buffer_wbinvl1_vol
.LBB1_3:
	s_or_b64 exec, exec, s[2:3]
	s_waitcnt lgkmcnt(0)
	s_barrier
	s_waitcnt lgkmcnt(0)
                                        ; implicit-def: $sgpr4_sgpr5
	s_and_saveexec_b64 s[2:3], s[0:1]
	s_cbranch_execz .LBB1_5
; %bb.4:
	s_memrealtime s[4:5]
.LBB1_5:
	s_or_b64 exec, exec, s[2:3]
	s_ashr_i32 s7, s6, 31
	s_cmp_lt_i32 s14, 1
	s_cbranch_scc1 .LBB1_28
; %bb.6:
	s_lshl_b64 s[2:3], s[6:7], 3
	s_add_u32 s2, s8, s2
	s_addc_u32 s3, s9, s3
	v_mov_b32_e32 v1, 0
	global_load_dwordx2 v[2:3], v1, s[2:3] offset:448
	global_load_dwordx2 v[4:5], v1, s[2:3]
	v_lshrrev_b32_e32 v6, 6, v0
	v_and_b32_e32 v7, 63, v0
	s_mov_b32 s2, 0
	s_waitcnt vmcnt(0)
	v_or_b32_e32 v1, v4, v2
	v_and_b32_e32 v1, 3, v1
	v_cmp_eq_u32_e32 vcc, 0, v1
	v_lshl_or_b32 v1, v6, 9, v7
	s_cbranch_vccnz .LBB1_9
; %bb.7:
	v_lshl_or_b32 v6, v6, 9, v7
	s_mov_b64 s[8:9], -1
	s_mov_b32 s15, s14
	s_cbranch_execz .LBB1_10
; %bb.8:
	s_and_b64 vcc, exec, s[8:9]
	s_cbranch_vccnz .LBB1_21
	s_branch .LBB1_28
.LBB1_9:
	s_mov_b64 s[8:9], 0
                                        ; implicit-def: $sgpr15
                                        ; implicit-def: $sgpr2
                                        ; implicit-def: $vgpr6
.LBB1_10:
	s_lshr_b32 s2, s14, 2
	s_and_b32 s15, s2, 0x1ffffe00
	v_cmp_gt_u32_e32 vcc, s15, v1
	s_and_saveexec_b64 s[8:9], vcc
	s_cbranch_execz .LBB1_13
; %bb.11:
	v_lshlrev_b32_e32 v8, 4, v1
	v_add_co_u32_e32 v6, vcc, v4, v8
	v_addc_co_u32_e32 v7, vcc, 0, v5, vcc
	v_add_co_u32_e32 v8, vcc, v2, v8
	v_addc_co_u32_e32 v9, vcc, 0, v3, vcc
	s_mov_b64 s[12:13], 0
	s_movk_i32 s16, 0x1000
	v_mov_b32_e32 v10, v1
.LBB1_12:                               ; =>This Inner Loop Header: Depth=1
	flat_load_dwordx4 v[12:15], v[8:9] glc slc
	flat_load_dwordx4 v[16:19], v[8:9] offset:1024 glc slc
	flat_load_dwordx4 v[20:23], v[8:9] offset:2048 glc slc
	;; [unrolled: 1-line block ×3, first 2 shown]
	v_add_co_u32_e32 v44, vcc, 0x1000, v8
	s_mov_b64 s[2:3], vcc
	v_addc_co_u32_e32 v47, vcc, 0, v9, vcc
	v_mov_b32_e32 v46, v44
	v_addc_co_u32_e64 v45, s[2:3], 0, v9, s[2:3]
	flat_load_dwordx4 v[28:31], v[46:47] glc slc
	flat_load_dwordx4 v[32:35], v[44:45] offset:1024 glc slc
	flat_load_dwordx4 v[36:39], v[44:45] offset:2048 glc slc
	flat_load_dwordx4 v[40:43], v[44:45] offset:3072 glc slc
	v_add_co_u32_e32 v44, vcc, s16, v6
	v_addc_co_u32_e32 v45, vcc, 0, v7, vcc
	v_add_co_u32_e32 v8, vcc, 0x8000, v8
	v_add_u32_e32 v10, 0x800, v10
	v_addc_co_u32_e32 v9, vcc, 0, v9, vcc
	v_cmp_le_u32_e64 s[2:3], s15, v10
	s_or_b64 s[12:13], s[2:3], s[12:13]
	s_waitcnt vmcnt(0) lgkmcnt(0)
	flat_store_dwordx4 v[6:7], v[12:15] glc slc
	flat_store_dwordx4 v[6:7], v[16:19] offset:1024 glc slc
	flat_store_dwordx4 v[6:7], v[20:23] offset:2048 glc slc
	;; [unrolled: 1-line block ×3, first 2 shown]
	v_add_co_u32_e32 v6, vcc, 0x8000, v6
	v_addc_co_u32_e32 v7, vcc, 0, v7, vcc
	flat_store_dwordx4 v[44:45], v[28:31] glc slc
	flat_store_dwordx4 v[44:45], v[32:35] offset:1024 glc slc
	flat_store_dwordx4 v[44:45], v[36:39] offset:2048 glc slc
	;; [unrolled: 1-line block ×3, first 2 shown]
	s_andn2_b64 exec, exec, s[12:13]
	s_cbranch_execnz .LBB1_12
.LBB1_13:
	s_or_b64 exec, exec, s[8:9]
	s_lshl_b32 s2, s15, 2
	s_cmp_eq_u32 s14, s2
	s_cbranch_scc1 .LBB1_19
; %bb.14:
	s_sub_i32 s16, s14, s2
	s_ashr_i32 s15, s16, 2
	v_cmp_gt_i32_e32 vcc, s15, v0
	s_and_saveexec_b64 s[8:9], vcc
	s_cbranch_execz .LBB1_17
; %bb.15:
	s_mov_b32 s3, 0
	s_lshl_b64 s[12:13], s[2:3], 2
	v_mov_b32_e32 v8, s13
	v_add_co_u32_e32 v6, vcc, s12, v4
	v_addc_co_u32_e32 v7, vcc, v5, v8, vcc
	v_lshlrev_b32_e32 v9, 4, v0
	v_add_co_u32_e32 v6, vcc, v6, v9
	v_addc_co_u32_e32 v7, vcc, 0, v7, vcc
	v_add_co_u32_e32 v10, vcc, s12, v2
	v_addc_co_u32_e32 v11, vcc, v3, v8, vcc
	;; [unrolled: 2-line block ×3, first 2 shown]
	s_mov_b64 s[12:13], 0
	v_mov_b32_e32 v10, v0
.LBB1_16:                               ; =>This Inner Loop Header: Depth=1
	flat_load_dwordx4 v[12:15], v[8:9] glc slc
	v_add_co_u32_e32 v8, vcc, 0x1000, v8
	v_add_u32_e32 v10, 0x100, v10
	v_addc_co_u32_e32 v9, vcc, 0, v9, vcc
	v_cmp_le_i32_e32 vcc, s15, v10
	s_or_b64 s[12:13], vcc, s[12:13]
	s_waitcnt vmcnt(0) lgkmcnt(0)
	flat_store_dwordx4 v[6:7], v[12:15] glc slc
	v_add_co_u32_e32 v6, vcc, 0x1000, v6
	v_addc_co_u32_e32 v7, vcc, 0, v7, vcc
	s_andn2_b64 exec, exec, s[12:13]
	s_cbranch_execnz .LBB1_16
.LBB1_17:
	s_or_b64 exec, exec, s[8:9]
	s_and_b32 s3, s14, 3
	s_cmp_eq_u32 s3, 0
	s_mov_b32 s15, 0
	s_cbranch_scc1 .LBB1_20
; %bb.18:
	s_and_b32 s8, s16, -4
	s_add_i32 s2, s8, s2
	s_mov_b32 s15, s3
	v_mov_b32_e32 v6, v1
	s_cbranch_execnz .LBB1_21
	s_branch .LBB1_28
.LBB1_19:
	s_mov_b32 s15, 0
	s_mov_b32 s2, 0
	v_mov_b32_e32 v6, v1
	s_branch .LBB1_28
.LBB1_20:
	v_mov_b32_e32 v6, v1
	s_branch .LBB1_28
.LBB1_21:
	s_and_b32 s16, s15, 0xfffffe00
	v_cmp_gt_i32_e32 vcc, s16, v6
	s_and_saveexec_b64 s[8:9], vcc
	s_cbranch_execz .LBB1_24
; %bb.22:
	s_ashr_i32 s3, s2, 31
	s_lshl_b64 s[12:13], s[2:3], 2
	v_mov_b32_e32 v1, s13
	v_add_co_u32_e32 v8, vcc, s12, v4
	v_mov_b32_e32 v7, 0
	v_addc_co_u32_e32 v9, vcc, v5, v1, vcc
	v_lshlrev_b64 v[10:11], 2, v[6:7]
	v_add_co_u32_e32 v8, vcc, v8, v10
	v_addc_co_u32_e32 v9, vcc, v9, v11, vcc
	v_add_co_u32_e32 v7, vcc, s12, v2
	v_addc_co_u32_e32 v1, vcc, v3, v1, vcc
	;; [unrolled: 2-line block ×3, first 2 shown]
	s_mov_b64 s[12:13], 0
.LBB1_23:                               ; =>This Inner Loop Header: Depth=1
	flat_load_dword v1, v[10:11] glc slc
	flat_load_dword v7, v[10:11] offset:256 glc slc
	flat_load_dword v12, v[10:11] offset:512 glc slc
	;; [unrolled: 1-line block ×7, first 2 shown]
	v_add_co_u32_e32 v10, vcc, 0x2000, v10
	v_add_u32_e32 v6, 0x800, v6
	v_addc_co_u32_e32 v11, vcc, 0, v11, vcc
	v_cmp_le_i32_e32 vcc, s16, v6
	s_or_b64 s[12:13], vcc, s[12:13]
	s_waitcnt vmcnt(0) lgkmcnt(0)
	flat_store_dword v[8:9], v1 glc slc
	flat_store_dword v[8:9], v7 offset:256 glc slc
	flat_store_dword v[8:9], v12 offset:512 glc slc
	;; [unrolled: 1-line block ×7, first 2 shown]
	v_add_co_u32_e32 v8, vcc, 0x2000, v8
	v_addc_co_u32_e32 v9, vcc, 0, v9, vcc
	s_andn2_b64 exec, exec, s[12:13]
	s_cbranch_execnz .LBB1_23
.LBB1_24:
	s_or_b64 exec, exec, s[8:9]
	s_and_b32 s12, s15, 0x1ff
	v_cmp_gt_u32_e32 vcc, s12, v0
	s_and_saveexec_b64 s[8:9], vcc
	s_cbranch_execz .LBB1_27
; %bb.25:
	s_add_i32 s2, s16, s2
	s_ashr_i32 s3, s2, 31
	s_lshl_b64 s[2:3], s[2:3], 2
	v_mov_b32_e32 v1, s3
	v_add_co_u32_e32 v4, vcc, s2, v4
	v_addc_co_u32_e32 v5, vcc, v5, v1, vcc
	v_lshlrev_b32_e32 v6, 2, v0
	v_add_co_u32_e32 v4, vcc, v4, v6
	v_addc_co_u32_e32 v5, vcc, 0, v5, vcc
	v_add_co_u32_e32 v2, vcc, s2, v2
	v_addc_co_u32_e32 v1, vcc, v3, v1, vcc
	;; [unrolled: 2-line block ×3, first 2 shown]
	s_mov_b64 s[2:3], 0
.LBB1_26:                               ; =>This Inner Loop Header: Depth=1
	flat_load_dword v1, v[2:3] glc slc
	v_add_co_u32_e32 v2, vcc, 0x400, v2
	v_add_u32_e32 v0, 0x100, v0
	v_addc_co_u32_e32 v3, vcc, 0, v3, vcc
	v_cmp_le_u32_e32 vcc, s12, v0
	s_or_b64 s[2:3], vcc, s[2:3]
	s_waitcnt vmcnt(0) lgkmcnt(0)
	flat_store_dword v[4:5], v1 glc slc
	v_add_co_u32_e32 v4, vcc, 0x400, v4
	v_addc_co_u32_e32 v5, vcc, 0, v5, vcc
	s_andn2_b64 exec, exec, s[2:3]
	s_cbranch_execnz .LBB1_26
.LBB1_27:
	s_or_b64 exec, exec, s[8:9]
.LBB1_28:
	s_waitcnt lgkmcnt(0)
	s_barrier
	s_and_saveexec_b64 s[2:3], s[0:1]
	s_cbranch_execz .LBB1_33
; %bb.29:
	s_lshl_b64 s[0:1], s[6:7], 3
	s_memrealtime s[6:7]
	s_mov_b64 s[8:9], exec
	v_mbcnt_lo_u32_b32 v0, s8, 0
	s_add_u32 s0, s10, s0
	v_mbcnt_hi_u32_b32 v0, s9, v0
	s_addc_u32 s1, s11, s1
	v_cmp_eq_u32_e32 vcc, 0, v0
	s_and_saveexec_b64 s[2:3], vcc
	s_cbranch_execz .LBB1_31
; %bb.30:
	s_waitcnt lgkmcnt(0)
	s_sub_u32 s4, s6, s4
	s_subb_u32 s5, s7, s5
	s_bcnt1_i32_b64 s6, s[8:9]
	s_mul_i32 s5, s5, s6
	s_mul_hi_u32 s7, s4, s6
	s_add_i32 s7, s7, s5
	s_mul_i32 s4, s4, s6
	v_mov_b32_e32 v0, s4
	v_mov_b32_e32 v1, s7
	;; [unrolled: 1-line block ×3, first 2 shown]
	buffer_wbl2
	s_waitcnt vmcnt(0)
	global_atomic_add_x2 v2, v[0:1], s[0:1]
	s_waitcnt vmcnt(0)
	buffer_invl2
	buffer_wbinvl1_vol
.LBB1_31:
	s_or_b64 exec, exec, s[2:3]
	s_mov_b64 s[2:3], exec
	v_mbcnt_lo_u32_b32 v0, s2, 0
	v_mbcnt_hi_u32_b32 v0, s3, v0
	v_cmp_eq_u32_e32 vcc, 0, v0
	s_and_b64 s[4:5], exec, vcc
	s_mov_b64 exec, s[4:5]
	s_cbranch_execz .LBB1_33
; %bb.32:
	s_bcnt1_i32_b64 s2, s[2:3]
	s_mul_hi_i32 s3, s14, s2
	s_mul_i32 s2, s14, s2
	s_lshl_b64 s[2:3], s[2:3], 2
	v_mov_b32_e32 v2, 0
	v_pk_mov_b32 v[0:1], s[2:3], s[2:3] op_sel:[0,1]
	buffer_wbl2
	s_waitcnt vmcnt(0) lgkmcnt(0)
	global_atomic_add_x2 v2, v[0:1], s[0:1] offset:448
	s_waitcnt vmcnt(0)
	buffer_invl2
	buffer_wbinvl1_vol
.LBB1_33:
	s_endpgm
	.section	.rodata,"a",@progbits
	.p2align	6, 0x0
	.amdhsa_kernel _Z16flag_sync_kernelILi0ELi0EEvP15transfer_data_tP16profiling_data_tm
		.amdhsa_group_segment_fixed_size 0
		.amdhsa_private_segment_fixed_size 0
		.amdhsa_kernarg_size 24
		.amdhsa_user_sgpr_count 6
		.amdhsa_user_sgpr_private_segment_buffer 1
		.amdhsa_user_sgpr_dispatch_ptr 0
		.amdhsa_user_sgpr_queue_ptr 0
		.amdhsa_user_sgpr_kernarg_segment_ptr 1
		.amdhsa_user_sgpr_dispatch_id 0
		.amdhsa_user_sgpr_flat_scratch_init 0
		.amdhsa_user_sgpr_kernarg_preload_length 0
		.amdhsa_user_sgpr_kernarg_preload_offset 0
		.amdhsa_user_sgpr_private_segment_size 0
		.amdhsa_uses_dynamic_stack 0
		.amdhsa_system_sgpr_private_segment_wavefront_offset 0
		.amdhsa_system_sgpr_workgroup_id_x 1
		.amdhsa_system_sgpr_workgroup_id_y 0
		.amdhsa_system_sgpr_workgroup_id_z 0
		.amdhsa_system_sgpr_workgroup_info 0
		.amdhsa_system_vgpr_workitem_id 0
		.amdhsa_next_free_vgpr 48
		.amdhsa_next_free_sgpr 18
		.amdhsa_accum_offset 48
		.amdhsa_reserve_vcc 1
		.amdhsa_reserve_flat_scratch 0
		.amdhsa_float_round_mode_32 0
		.amdhsa_float_round_mode_16_64 0
		.amdhsa_float_denorm_mode_32 3
		.amdhsa_float_denorm_mode_16_64 3
		.amdhsa_dx10_clamp 1
		.amdhsa_ieee_mode 1
		.amdhsa_fp16_overflow 0
		.amdhsa_tg_split 0
		.amdhsa_exception_fp_ieee_invalid_op 0
		.amdhsa_exception_fp_denorm_src 0
		.amdhsa_exception_fp_ieee_div_zero 0
		.amdhsa_exception_fp_ieee_overflow 0
		.amdhsa_exception_fp_ieee_underflow 0
		.amdhsa_exception_fp_ieee_inexact 0
		.amdhsa_exception_int_div_zero 0
	.end_amdhsa_kernel
	.section	.text._Z16flag_sync_kernelILi0ELi0EEvP15transfer_data_tP16profiling_data_tm,"axG",@progbits,_Z16flag_sync_kernelILi0ELi0EEvP15transfer_data_tP16profiling_data_tm,comdat
.Lfunc_end1:
	.size	_Z16flag_sync_kernelILi0ELi0EEvP15transfer_data_tP16profiling_data_tm, .Lfunc_end1-_Z16flag_sync_kernelILi0ELi0EEvP15transfer_data_tP16profiling_data_tm
                                        ; -- End function
	.section	.AMDGPU.csdata,"",@progbits
; Kernel info:
; codeLenInByte = 1492
; NumSgprs: 22
; NumVgprs: 48
; NumAgprs: 0
; TotalNumVgprs: 48
; ScratchSize: 0
; MemoryBound: 0
; FloatMode: 240
; IeeeMode: 1
; LDSByteSize: 0 bytes/workgroup (compile time only)
; SGPRBlocks: 2
; VGPRBlocks: 5
; NumSGPRsForWavesPerEU: 22
; NumVGPRsForWavesPerEU: 48
; AccumOffset: 48
; Occupancy: 8
; WaveLimiterHint : 1
; COMPUTE_PGM_RSRC2:SCRATCH_EN: 0
; COMPUTE_PGM_RSRC2:USER_SGPR: 6
; COMPUTE_PGM_RSRC2:TRAP_HANDLER: 0
; COMPUTE_PGM_RSRC2:TGID_X_EN: 1
; COMPUTE_PGM_RSRC2:TGID_Y_EN: 0
; COMPUTE_PGM_RSRC2:TGID_Z_EN: 0
; COMPUTE_PGM_RSRC2:TIDIG_COMP_CNT: 0
; COMPUTE_PGM_RSRC3_GFX90A:ACCUM_OFFSET: 11
; COMPUTE_PGM_RSRC3_GFX90A:TG_SPLIT: 0
	.section	.text._Z16flag_sync_kernelILi0ELi1EEvP15transfer_data_tP16profiling_data_tm,"axG",@progbits,_Z16flag_sync_kernelILi0ELi1EEvP15transfer_data_tP16profiling_data_tm,comdat
	.protected	_Z16flag_sync_kernelILi0ELi1EEvP15transfer_data_tP16profiling_data_tm ; -- Begin function _Z16flag_sync_kernelILi0ELi1EEvP15transfer_data_tP16profiling_data_tm
	.globl	_Z16flag_sync_kernelILi0ELi1EEvP15transfer_data_tP16profiling_data_tm
	.p2align	8
	.type	_Z16flag_sync_kernelILi0ELi1EEvP15transfer_data_tP16profiling_data_tm,@function
_Z16flag_sync_kernelILi0ELi1EEvP15transfer_data_tP16profiling_data_tm: ; @_Z16flag_sync_kernelILi0ELi1EEvP15transfer_data_tP16profiling_data_tm
; %bb.0:
	s_load_dwordx4 s[8:11], s[4:5], 0x0
	s_load_dwordx2 s[2:3], s[4:5], 0x10
	v_cmp_eq_u32_e64 s[0:1], 0, v0
	s_waitcnt lgkmcnt(0)
	s_load_dword s18, s[8:9], 0x8c0
	s_and_saveexec_b64 s[4:5], s[0:1]
	s_cbranch_execz .LBB2_8
; %bb.1:
	s_mov_b64 s[14:15], exec
	v_mbcnt_lo_u32_b32 v1, s14, 0
	v_mbcnt_hi_u32_b32 v1, s15, v1
	v_cmp_eq_u32_e32 vcc, 0, v1
	s_and_saveexec_b64 s[12:13], vcc
	s_cbranch_execz .LBB2_3
; %bb.2:
	s_load_dword s16, s[8:9], 0x8c4
	s_load_dwordx2 s[20:21], s[8:9], 0x8d0
	v_mov_b32_e32 v3, 0
	s_waitcnt lgkmcnt(0)
	s_ashr_i32 s17, s16, 31
	s_lshl_b64 s[16:17], s[16:17], 3
	s_add_u32 s16, s20, s16
	s_addc_u32 s17, s21, s17
	s_bcnt1_i32_b64 s7, s[14:15]
	v_mov_b32_e32 v2, s7
	buffer_wbl2
	global_atomic_add_x2 v3, v[2:3], s[16:17]
	s_waitcnt vmcnt(0)
	buffer_invl2
	buffer_wbinvl1_vol
.LBB2_3:
	s_or_b64 exec, exec, s[12:13]
	v_mov_b32_e32 v1, 0
	global_load_dword v2, v1, s[8:9] offset:2248
	s_waitcnt vmcnt(0)
	v_cmp_gt_i32_e32 vcc, 1, v2
	s_cbranch_vccnz .LBB2_8
; %bb.4:
	s_mov_b32 s13, 0
	s_mov_b32 s12, s13
.LBB2_5:                                ; =>This Loop Header: Depth=1
                                        ;     Child Loop BB2_6 Depth 2
	s_lshl_b64 s[16:17], s[12:13], 3
	s_mov_b64 s[14:15], 0
	v_mov_b32_e32 v2, s17
.LBB2_6:                                ;   Parent Loop BB2_5 Depth=1
                                        ; =>  This Inner Loop Header: Depth=2
	global_load_dwordx2 v[4:5], v1, s[8:9] offset:2256
	s_waitcnt vmcnt(0)
	v_add_co_u32_e32 v4, vcc, s16, v4
	v_addc_co_u32_e32 v5, vcc, v5, v2, vcc
	s_waitcnt lgkmcnt(0)
	flat_load_dwordx2 v[4:5], v[4:5] glc
	s_waitcnt vmcnt(0) lgkmcnt(0)
	buffer_invl2
	buffer_wbinvl1_vol
	v_cmp_le_u64_e32 vcc, s[2:3], v[4:5]
	s_or_b64 s[14:15], vcc, s[14:15]
	s_andn2_b64 exec, exec, s[14:15]
	s_cbranch_execnz .LBB2_6
; %bb.7:                                ;   in Loop: Header=BB2_5 Depth=1
	s_or_b64 exec, exec, s[14:15]
	global_load_dword v2, v1, s[8:9] offset:2248
	s_add_i32 s12, s12, 1
	s_waitcnt vmcnt(0)
	v_cmp_lt_i32_e32 vcc, s12, v2
	s_cbranch_vccnz .LBB2_5
.LBB2_8:
	s_or_b64 exec, exec, s[4:5]
	s_waitcnt lgkmcnt(0)
	s_barrier
	s_waitcnt lgkmcnt(0)
                                        ; implicit-def: $sgpr4_sgpr5
	s_and_saveexec_b64 s[2:3], s[0:1]
	s_cbranch_execz .LBB2_10
; %bb.9:
	s_memrealtime s[4:5]
.LBB2_10:
	s_or_b64 exec, exec, s[2:3]
	s_ashr_i32 s7, s6, 31
	s_cmp_lt_i32 s18, 1
	s_cbranch_scc1 .LBB2_33
; %bb.11:
	s_lshl_b64 s[2:3], s[6:7], 3
	s_add_u32 s2, s8, s2
	s_addc_u32 s3, s9, s3
	v_mov_b32_e32 v1, 0
	global_load_dwordx2 v[2:3], v1, s[2:3] offset:448
	global_load_dwordx2 v[4:5], v1, s[2:3]
	v_lshrrev_b32_e32 v6, 6, v0
	v_and_b32_e32 v7, 63, v0
	s_mov_b32 s2, 0
	s_waitcnt vmcnt(0)
	v_or_b32_e32 v1, v4, v2
	v_and_b32_e32 v1, 3, v1
	v_cmp_eq_u32_e32 vcc, 0, v1
	v_lshl_or_b32 v1, v6, 9, v7
	s_cbranch_vccnz .LBB2_14
; %bb.12:
	v_lshl_or_b32 v6, v6, 9, v7
	s_mov_b64 s[8:9], -1
	s_mov_b32 s14, s18
	s_cbranch_execz .LBB2_15
; %bb.13:
	s_and_b64 vcc, exec, s[8:9]
	s_cbranch_vccnz .LBB2_26
	s_branch .LBB2_33
.LBB2_14:
	s_mov_b64 s[8:9], 0
                                        ; implicit-def: $sgpr2
                                        ; implicit-def: $vgpr6
	s_mov_b32 s14, s18
.LBB2_15:
	s_lshr_b32 s2, s18, 2
	s_and_b32 s14, s2, 0x1ffffe00
	v_cmp_gt_u32_e32 vcc, s14, v1
	s_and_saveexec_b64 s[8:9], vcc
	s_cbranch_execz .LBB2_18
; %bb.16:
	v_lshlrev_b32_e32 v8, 4, v1
	v_add_co_u32_e32 v6, vcc, v4, v8
	v_addc_co_u32_e32 v7, vcc, 0, v5, vcc
	v_add_co_u32_e32 v8, vcc, v2, v8
	v_addc_co_u32_e32 v9, vcc, 0, v3, vcc
	s_mov_b64 s[12:13], 0
	s_movk_i32 s15, 0x1000
	v_mov_b32_e32 v10, v1
.LBB2_17:                               ; =>This Inner Loop Header: Depth=1
	flat_load_dwordx4 v[12:15], v[8:9] glc slc
	flat_load_dwordx4 v[16:19], v[8:9] offset:1024 glc slc
	flat_load_dwordx4 v[20:23], v[8:9] offset:2048 glc slc
	;; [unrolled: 1-line block ×3, first 2 shown]
	v_add_co_u32_e32 v44, vcc, 0x1000, v8
	s_mov_b64 s[2:3], vcc
	v_addc_co_u32_e32 v47, vcc, 0, v9, vcc
	v_mov_b32_e32 v46, v44
	v_addc_co_u32_e64 v45, s[2:3], 0, v9, s[2:3]
	flat_load_dwordx4 v[28:31], v[46:47] glc slc
	flat_load_dwordx4 v[32:35], v[44:45] offset:1024 glc slc
	flat_load_dwordx4 v[36:39], v[44:45] offset:2048 glc slc
	;; [unrolled: 1-line block ×3, first 2 shown]
	v_add_co_u32_e32 v44, vcc, s15, v6
	v_addc_co_u32_e32 v45, vcc, 0, v7, vcc
	v_add_co_u32_e32 v8, vcc, 0x8000, v8
	v_add_u32_e32 v10, 0x800, v10
	v_addc_co_u32_e32 v9, vcc, 0, v9, vcc
	v_cmp_le_u32_e64 s[2:3], s14, v10
	s_or_b64 s[12:13], s[2:3], s[12:13]
	s_waitcnt vmcnt(0) lgkmcnt(0)
	flat_store_dwordx4 v[6:7], v[12:15] glc slc
	flat_store_dwordx4 v[6:7], v[16:19] offset:1024 glc slc
	flat_store_dwordx4 v[6:7], v[20:23] offset:2048 glc slc
	;; [unrolled: 1-line block ×3, first 2 shown]
	v_add_co_u32_e32 v6, vcc, 0x8000, v6
	v_addc_co_u32_e32 v7, vcc, 0, v7, vcc
	flat_store_dwordx4 v[44:45], v[28:31] glc slc
	flat_store_dwordx4 v[44:45], v[32:35] offset:1024 glc slc
	flat_store_dwordx4 v[44:45], v[36:39] offset:2048 glc slc
	;; [unrolled: 1-line block ×3, first 2 shown]
	s_andn2_b64 exec, exec, s[12:13]
	s_cbranch_execnz .LBB2_17
.LBB2_18:
	s_or_b64 exec, exec, s[8:9]
	s_lshl_b32 s2, s14, 2
	s_cmp_eq_u32 s18, s2
	s_cbranch_scc1 .LBB2_24
; %bb.19:
	s_sub_i32 s15, s18, s2
	s_ashr_i32 s14, s15, 2
	v_cmp_gt_i32_e32 vcc, s14, v0
	s_and_saveexec_b64 s[8:9], vcc
	s_cbranch_execz .LBB2_22
; %bb.20:
	s_mov_b32 s3, 0
	s_lshl_b64 s[12:13], s[2:3], 2
	v_mov_b32_e32 v8, s13
	v_add_co_u32_e32 v6, vcc, s12, v4
	v_addc_co_u32_e32 v7, vcc, v5, v8, vcc
	v_lshlrev_b32_e32 v9, 4, v0
	v_add_co_u32_e32 v6, vcc, v6, v9
	v_addc_co_u32_e32 v7, vcc, 0, v7, vcc
	v_add_co_u32_e32 v10, vcc, s12, v2
	v_addc_co_u32_e32 v11, vcc, v3, v8, vcc
	;; [unrolled: 2-line block ×3, first 2 shown]
	s_mov_b64 s[12:13], 0
	v_mov_b32_e32 v10, v0
.LBB2_21:                               ; =>This Inner Loop Header: Depth=1
	flat_load_dwordx4 v[12:15], v[8:9] glc slc
	v_add_co_u32_e32 v8, vcc, 0x1000, v8
	v_add_u32_e32 v10, 0x100, v10
	v_addc_co_u32_e32 v9, vcc, 0, v9, vcc
	v_cmp_le_i32_e32 vcc, s14, v10
	s_or_b64 s[12:13], vcc, s[12:13]
	s_waitcnt vmcnt(0) lgkmcnt(0)
	flat_store_dwordx4 v[6:7], v[12:15] glc slc
	v_add_co_u32_e32 v6, vcc, 0x1000, v6
	v_addc_co_u32_e32 v7, vcc, 0, v7, vcc
	s_andn2_b64 exec, exec, s[12:13]
	s_cbranch_execnz .LBB2_21
.LBB2_22:
	s_or_b64 exec, exec, s[8:9]
	s_and_b32 s3, s18, 3
	s_cmp_eq_u32 s3, 0
	s_mov_b32 s14, 0
	s_cbranch_scc1 .LBB2_25
; %bb.23:
	s_and_b32 s8, s15, -4
	s_add_i32 s2, s8, s2
	s_mov_b32 s14, s3
	v_mov_b32_e32 v6, v1
	s_cbranch_execnz .LBB2_26
	s_branch .LBB2_33
.LBB2_24:
	s_mov_b32 s14, 0
	s_mov_b32 s2, 0
	v_mov_b32_e32 v6, v1
	s_branch .LBB2_33
.LBB2_25:
	v_mov_b32_e32 v6, v1
	s_branch .LBB2_33
.LBB2_26:
	s_and_b32 s15, s14, 0xfffffe00
	v_cmp_gt_i32_e32 vcc, s15, v6
	s_and_saveexec_b64 s[8:9], vcc
	s_cbranch_execz .LBB2_29
; %bb.27:
	s_ashr_i32 s3, s2, 31
	s_lshl_b64 s[12:13], s[2:3], 2
	v_mov_b32_e32 v1, s13
	v_add_co_u32_e32 v8, vcc, s12, v4
	v_mov_b32_e32 v7, 0
	v_addc_co_u32_e32 v9, vcc, v5, v1, vcc
	v_lshlrev_b64 v[10:11], 2, v[6:7]
	v_add_co_u32_e32 v8, vcc, v8, v10
	v_addc_co_u32_e32 v9, vcc, v9, v11, vcc
	v_add_co_u32_e32 v7, vcc, s12, v2
	v_addc_co_u32_e32 v1, vcc, v3, v1, vcc
	;; [unrolled: 2-line block ×3, first 2 shown]
	s_mov_b64 s[12:13], 0
.LBB2_28:                               ; =>This Inner Loop Header: Depth=1
	flat_load_dword v1, v[10:11] glc slc
	flat_load_dword v7, v[10:11] offset:256 glc slc
	flat_load_dword v12, v[10:11] offset:512 glc slc
	;; [unrolled: 1-line block ×7, first 2 shown]
	v_add_co_u32_e32 v10, vcc, 0x2000, v10
	v_add_u32_e32 v6, 0x800, v6
	v_addc_co_u32_e32 v11, vcc, 0, v11, vcc
	v_cmp_le_i32_e32 vcc, s15, v6
	s_or_b64 s[12:13], vcc, s[12:13]
	s_waitcnt vmcnt(0) lgkmcnt(0)
	flat_store_dword v[8:9], v1 glc slc
	flat_store_dword v[8:9], v7 offset:256 glc slc
	flat_store_dword v[8:9], v12 offset:512 glc slc
	;; [unrolled: 1-line block ×7, first 2 shown]
	v_add_co_u32_e32 v8, vcc, 0x2000, v8
	v_addc_co_u32_e32 v9, vcc, 0, v9, vcc
	s_andn2_b64 exec, exec, s[12:13]
	s_cbranch_execnz .LBB2_28
.LBB2_29:
	s_or_b64 exec, exec, s[8:9]
	s_and_b32 s12, s14, 0x1ff
	v_cmp_gt_u32_e32 vcc, s12, v0
	s_and_saveexec_b64 s[8:9], vcc
	s_cbranch_execz .LBB2_32
; %bb.30:
	s_add_i32 s2, s15, s2
	s_ashr_i32 s3, s2, 31
	s_lshl_b64 s[2:3], s[2:3], 2
	v_mov_b32_e32 v1, s3
	v_add_co_u32_e32 v4, vcc, s2, v4
	v_addc_co_u32_e32 v5, vcc, v5, v1, vcc
	v_lshlrev_b32_e32 v6, 2, v0
	v_add_co_u32_e32 v4, vcc, v4, v6
	v_addc_co_u32_e32 v5, vcc, 0, v5, vcc
	v_add_co_u32_e32 v2, vcc, s2, v2
	v_addc_co_u32_e32 v1, vcc, v3, v1, vcc
	;; [unrolled: 2-line block ×3, first 2 shown]
	s_mov_b64 s[2:3], 0
.LBB2_31:                               ; =>This Inner Loop Header: Depth=1
	flat_load_dword v1, v[2:3] glc slc
	v_add_co_u32_e32 v2, vcc, 0x400, v2
	v_add_u32_e32 v0, 0x100, v0
	v_addc_co_u32_e32 v3, vcc, 0, v3, vcc
	v_cmp_le_u32_e32 vcc, s12, v0
	s_or_b64 s[2:3], vcc, s[2:3]
	s_waitcnt vmcnt(0) lgkmcnt(0)
	flat_store_dword v[4:5], v1 glc slc
	v_add_co_u32_e32 v4, vcc, 0x400, v4
	v_addc_co_u32_e32 v5, vcc, 0, v5, vcc
	s_andn2_b64 exec, exec, s[2:3]
	s_cbranch_execnz .LBB2_31
.LBB2_32:
	s_or_b64 exec, exec, s[8:9]
.LBB2_33:
	s_waitcnt lgkmcnt(0)
	s_barrier
	s_and_saveexec_b64 s[2:3], s[0:1]
	s_cbranch_execz .LBB2_38
; %bb.34:
	s_lshl_b64 s[0:1], s[6:7], 3
	s_memrealtime s[6:7]
	s_mov_b64 s[8:9], exec
	v_mbcnt_lo_u32_b32 v0, s8, 0
	s_add_u32 s0, s10, s0
	v_mbcnt_hi_u32_b32 v0, s9, v0
	s_addc_u32 s1, s11, s1
	v_cmp_eq_u32_e32 vcc, 0, v0
	s_and_saveexec_b64 s[2:3], vcc
	s_cbranch_execz .LBB2_36
; %bb.35:
	s_waitcnt lgkmcnt(0)
	s_sub_u32 s4, s6, s4
	s_subb_u32 s5, s7, s5
	s_bcnt1_i32_b64 s6, s[8:9]
	s_mul_i32 s5, s5, s6
	s_mul_hi_u32 s7, s4, s6
	s_add_i32 s7, s7, s5
	s_mul_i32 s4, s4, s6
	v_mov_b32_e32 v0, s4
	v_mov_b32_e32 v1, s7
	;; [unrolled: 1-line block ×3, first 2 shown]
	buffer_wbl2
	s_waitcnt vmcnt(0)
	global_atomic_add_x2 v2, v[0:1], s[0:1]
	s_waitcnt vmcnt(0)
	buffer_invl2
	buffer_wbinvl1_vol
.LBB2_36:
	s_or_b64 exec, exec, s[2:3]
	s_mov_b64 s[2:3], exec
	v_mbcnt_lo_u32_b32 v0, s2, 0
	v_mbcnt_hi_u32_b32 v0, s3, v0
	v_cmp_eq_u32_e32 vcc, 0, v0
	s_and_b64 s[4:5], exec, vcc
	s_mov_b64 exec, s[4:5]
	s_cbranch_execz .LBB2_38
; %bb.37:
	s_bcnt1_i32_b64 s2, s[2:3]
	s_mul_hi_i32 s3, s18, s2
	s_mul_i32 s2, s18, s2
	s_lshl_b64 s[2:3], s[2:3], 2
	v_mov_b32_e32 v2, 0
	v_pk_mov_b32 v[0:1], s[2:3], s[2:3] op_sel:[0,1]
	buffer_wbl2
	s_waitcnt vmcnt(0) lgkmcnt(0)
	global_atomic_add_x2 v2, v[0:1], s[0:1] offset:448
	s_waitcnt vmcnt(0)
	buffer_invl2
	buffer_wbinvl1_vol
.LBB2_38:
	s_endpgm
	.section	.rodata,"a",@progbits
	.p2align	6, 0x0
	.amdhsa_kernel _Z16flag_sync_kernelILi0ELi1EEvP15transfer_data_tP16profiling_data_tm
		.amdhsa_group_segment_fixed_size 0
		.amdhsa_private_segment_fixed_size 0
		.amdhsa_kernarg_size 24
		.amdhsa_user_sgpr_count 6
		.amdhsa_user_sgpr_private_segment_buffer 1
		.amdhsa_user_sgpr_dispatch_ptr 0
		.amdhsa_user_sgpr_queue_ptr 0
		.amdhsa_user_sgpr_kernarg_segment_ptr 1
		.amdhsa_user_sgpr_dispatch_id 0
		.amdhsa_user_sgpr_flat_scratch_init 0
		.amdhsa_user_sgpr_kernarg_preload_length 0
		.amdhsa_user_sgpr_kernarg_preload_offset 0
		.amdhsa_user_sgpr_private_segment_size 0
		.amdhsa_uses_dynamic_stack 0
		.amdhsa_system_sgpr_private_segment_wavefront_offset 0
		.amdhsa_system_sgpr_workgroup_id_x 1
		.amdhsa_system_sgpr_workgroup_id_y 0
		.amdhsa_system_sgpr_workgroup_id_z 0
		.amdhsa_system_sgpr_workgroup_info 0
		.amdhsa_system_vgpr_workitem_id 0
		.amdhsa_next_free_vgpr 48
		.amdhsa_next_free_sgpr 22
		.amdhsa_accum_offset 48
		.amdhsa_reserve_vcc 1
		.amdhsa_reserve_flat_scratch 0
		.amdhsa_float_round_mode_32 0
		.amdhsa_float_round_mode_16_64 0
		.amdhsa_float_denorm_mode_32 3
		.amdhsa_float_denorm_mode_16_64 3
		.amdhsa_dx10_clamp 1
		.amdhsa_ieee_mode 1
		.amdhsa_fp16_overflow 0
		.amdhsa_tg_split 0
		.amdhsa_exception_fp_ieee_invalid_op 0
		.amdhsa_exception_fp_denorm_src 0
		.amdhsa_exception_fp_ieee_div_zero 0
		.amdhsa_exception_fp_ieee_overflow 0
		.amdhsa_exception_fp_ieee_underflow 0
		.amdhsa_exception_fp_ieee_inexact 0
		.amdhsa_exception_int_div_zero 0
	.end_amdhsa_kernel
	.section	.text._Z16flag_sync_kernelILi0ELi1EEvP15transfer_data_tP16profiling_data_tm,"axG",@progbits,_Z16flag_sync_kernelILi0ELi1EEvP15transfer_data_tP16profiling_data_tm,comdat
.Lfunc_end2:
	.size	_Z16flag_sync_kernelILi0ELi1EEvP15transfer_data_tP16profiling_data_tm, .Lfunc_end2-_Z16flag_sync_kernelILi0ELi1EEvP15transfer_data_tP16profiling_data_tm
                                        ; -- End function
	.section	.AMDGPU.csdata,"",@progbits
; Kernel info:
; codeLenInByte = 1644
; NumSgprs: 26
; NumVgprs: 48
; NumAgprs: 0
; TotalNumVgprs: 48
; ScratchSize: 0
; MemoryBound: 0
; FloatMode: 240
; IeeeMode: 1
; LDSByteSize: 0 bytes/workgroup (compile time only)
; SGPRBlocks: 3
; VGPRBlocks: 5
; NumSGPRsForWavesPerEU: 26
; NumVGPRsForWavesPerEU: 48
; AccumOffset: 48
; Occupancy: 8
; WaveLimiterHint : 1
; COMPUTE_PGM_RSRC2:SCRATCH_EN: 0
; COMPUTE_PGM_RSRC2:USER_SGPR: 6
; COMPUTE_PGM_RSRC2:TRAP_HANDLER: 0
; COMPUTE_PGM_RSRC2:TGID_X_EN: 1
; COMPUTE_PGM_RSRC2:TGID_Y_EN: 0
; COMPUTE_PGM_RSRC2:TGID_Z_EN: 0
; COMPUTE_PGM_RSRC2:TIDIG_COMP_CNT: 0
; COMPUTE_PGM_RSRC3_GFX90A:ACCUM_OFFSET: 11
; COMPUTE_PGM_RSRC3_GFX90A:TG_SPLIT: 0
	.section	.text._Z16flag_sync_kernelILi1ELi0EEvP15transfer_data_tP16profiling_data_tm,"axG",@progbits,_Z16flag_sync_kernelILi1ELi0EEvP15transfer_data_tP16profiling_data_tm,comdat
	.protected	_Z16flag_sync_kernelILi1ELi0EEvP15transfer_data_tP16profiling_data_tm ; -- Begin function _Z16flag_sync_kernelILi1ELi0EEvP15transfer_data_tP16profiling_data_tm
	.globl	_Z16flag_sync_kernelILi1ELi0EEvP15transfer_data_tP16profiling_data_tm
	.p2align	8
	.type	_Z16flag_sync_kernelILi1ELi0EEvP15transfer_data_tP16profiling_data_tm,@function
_Z16flag_sync_kernelILi1ELi0EEvP15transfer_data_tP16profiling_data_tm: ; @_Z16flag_sync_kernelILi1ELi0EEvP15transfer_data_tP16profiling_data_tm
; %bb.0:
	s_load_dwordx4 s[8:11], s[4:5], 0x0
	v_cmp_eq_u32_e64 s[0:1], 0, v0
	s_waitcnt lgkmcnt(0)
	s_load_dword s14, s[8:9], 0x8c0
	s_and_saveexec_b64 s[2:3], s[0:1]
	s_cbranch_execz .LBB3_3
; %bb.1:
	s_mov_b64 s[4:5], exec
	v_mbcnt_lo_u32_b32 v1, s4, 0
	v_mbcnt_hi_u32_b32 v1, s5, v1
	v_cmp_eq_u32_e32 vcc, 0, v1
	s_and_b64 s[12:13], exec, vcc
	s_mov_b64 exec, s[12:13]
	s_cbranch_execz .LBB3_3
; %bb.2:
	s_load_dword s12, s[8:9], 0x8c4
	s_load_dwordx2 s[16:17], s[8:9], 0x8d0
	v_mov_b32_e32 v3, 0
	s_waitcnt lgkmcnt(0)
	s_ashr_i32 s13, s12, 31
	s_lshl_b64 s[12:13], s[12:13], 3
	s_add_u32 s12, s16, s12
	s_addc_u32 s13, s17, s13
	s_bcnt1_i32_b64 s4, s[4:5]
	v_mov_b32_e32 v2, s4
	buffer_wbl2
	global_atomic_add_x2 v3, v[2:3], s[12:13]
	s_waitcnt vmcnt(0)
	buffer_invl2
	buffer_wbinvl1_vol
.LBB3_3:
	s_or_b64 exec, exec, s[2:3]
	s_waitcnt lgkmcnt(0)
	s_barrier
	s_waitcnt lgkmcnt(0)
                                        ; implicit-def: $sgpr4_sgpr5
	s_and_saveexec_b64 s[2:3], s[0:1]
	s_cbranch_execz .LBB3_5
; %bb.4:
	s_memrealtime s[4:5]
.LBB3_5:
	s_or_b64 exec, exec, s[2:3]
	s_ashr_i32 s7, s6, 31
	s_cmp_lt_i32 s14, 1
	s_cbranch_scc1 .LBB3_28
; %bb.6:
	s_lshl_b64 s[2:3], s[6:7], 3
	s_add_u32 s2, s8, s2
	s_addc_u32 s3, s9, s3
	v_mov_b32_e32 v1, 0
	global_load_dwordx2 v[2:3], v1, s[2:3] offset:448
	global_load_dwordx2 v[4:5], v1, s[2:3] offset:896
	v_lshrrev_b32_e32 v6, 6, v0
	v_and_b32_e32 v7, 63, v0
	s_mov_b32 s2, 0
	s_waitcnt vmcnt(0)
	v_or_b32_e32 v1, v4, v2
	v_and_b32_e32 v1, 3, v1
	v_cmp_eq_u32_e32 vcc, 0, v1
	v_lshl_or_b32 v1, v6, 9, v7
	s_cbranch_vccnz .LBB3_9
; %bb.7:
	v_lshl_or_b32 v6, v6, 9, v7
	s_mov_b64 s[8:9], -1
	s_mov_b32 s15, s14
	s_cbranch_execz .LBB3_10
; %bb.8:
	s_and_b64 vcc, exec, s[8:9]
	s_cbranch_vccnz .LBB3_21
	s_branch .LBB3_28
.LBB3_9:
	s_mov_b64 s[8:9], 0
                                        ; implicit-def: $sgpr15
                                        ; implicit-def: $sgpr2
                                        ; implicit-def: $vgpr6
.LBB3_10:
	s_lshr_b32 s2, s14, 2
	s_and_b32 s15, s2, 0x1ffffe00
	v_cmp_gt_u32_e32 vcc, s15, v1
	s_and_saveexec_b64 s[8:9], vcc
	s_cbranch_execz .LBB3_13
; %bb.11:
	v_lshlrev_b32_e32 v8, 4, v1
	v_add_co_u32_e32 v6, vcc, v4, v8
	v_addc_co_u32_e32 v7, vcc, 0, v5, vcc
	v_add_co_u32_e32 v8, vcc, v2, v8
	v_addc_co_u32_e32 v9, vcc, 0, v3, vcc
	s_mov_b64 s[12:13], 0
	s_movk_i32 s16, 0x1000
	v_mov_b32_e32 v10, v1
.LBB3_12:                               ; =>This Inner Loop Header: Depth=1
	flat_load_dwordx4 v[12:15], v[8:9] glc slc
	flat_load_dwordx4 v[16:19], v[8:9] offset:1024 glc slc
	flat_load_dwordx4 v[20:23], v[8:9] offset:2048 glc slc
	;; [unrolled: 1-line block ×3, first 2 shown]
	v_add_co_u32_e32 v44, vcc, 0x1000, v8
	s_mov_b64 s[2:3], vcc
	v_addc_co_u32_e32 v47, vcc, 0, v9, vcc
	v_mov_b32_e32 v46, v44
	v_addc_co_u32_e64 v45, s[2:3], 0, v9, s[2:3]
	flat_load_dwordx4 v[28:31], v[46:47] glc slc
	flat_load_dwordx4 v[32:35], v[44:45] offset:1024 glc slc
	flat_load_dwordx4 v[36:39], v[44:45] offset:2048 glc slc
	;; [unrolled: 1-line block ×3, first 2 shown]
	v_add_co_u32_e32 v44, vcc, s16, v6
	v_addc_co_u32_e32 v45, vcc, 0, v7, vcc
	v_add_co_u32_e32 v8, vcc, 0x8000, v8
	v_add_u32_e32 v10, 0x800, v10
	v_addc_co_u32_e32 v9, vcc, 0, v9, vcc
	v_cmp_le_u32_e64 s[2:3], s15, v10
	s_or_b64 s[12:13], s[2:3], s[12:13]
	s_waitcnt vmcnt(0) lgkmcnt(0)
	flat_store_dwordx4 v[6:7], v[12:15] glc slc
	flat_store_dwordx4 v[6:7], v[16:19] offset:1024 glc slc
	flat_store_dwordx4 v[6:7], v[20:23] offset:2048 glc slc
	flat_store_dwordx4 v[6:7], v[24:27] offset:3072 glc slc
	v_add_co_u32_e32 v6, vcc, 0x8000, v6
	v_addc_co_u32_e32 v7, vcc, 0, v7, vcc
	flat_store_dwordx4 v[44:45], v[28:31] glc slc
	flat_store_dwordx4 v[44:45], v[32:35] offset:1024 glc slc
	flat_store_dwordx4 v[44:45], v[36:39] offset:2048 glc slc
	;; [unrolled: 1-line block ×3, first 2 shown]
	s_andn2_b64 exec, exec, s[12:13]
	s_cbranch_execnz .LBB3_12
.LBB3_13:
	s_or_b64 exec, exec, s[8:9]
	s_lshl_b32 s2, s15, 2
	s_cmp_eq_u32 s14, s2
	s_cbranch_scc1 .LBB3_19
; %bb.14:
	s_sub_i32 s16, s14, s2
	s_ashr_i32 s15, s16, 2
	v_cmp_gt_i32_e32 vcc, s15, v0
	s_and_saveexec_b64 s[8:9], vcc
	s_cbranch_execz .LBB3_17
; %bb.15:
	s_mov_b32 s3, 0
	s_lshl_b64 s[12:13], s[2:3], 2
	v_mov_b32_e32 v8, s13
	v_add_co_u32_e32 v6, vcc, s12, v4
	v_addc_co_u32_e32 v7, vcc, v5, v8, vcc
	v_lshlrev_b32_e32 v9, 4, v0
	v_add_co_u32_e32 v6, vcc, v6, v9
	v_addc_co_u32_e32 v7, vcc, 0, v7, vcc
	v_add_co_u32_e32 v10, vcc, s12, v2
	v_addc_co_u32_e32 v11, vcc, v3, v8, vcc
	;; [unrolled: 2-line block ×3, first 2 shown]
	s_mov_b64 s[12:13], 0
	v_mov_b32_e32 v10, v0
.LBB3_16:                               ; =>This Inner Loop Header: Depth=1
	flat_load_dwordx4 v[12:15], v[8:9] glc slc
	v_add_co_u32_e32 v8, vcc, 0x1000, v8
	v_add_u32_e32 v10, 0x100, v10
	v_addc_co_u32_e32 v9, vcc, 0, v9, vcc
	v_cmp_le_i32_e32 vcc, s15, v10
	s_or_b64 s[12:13], vcc, s[12:13]
	s_waitcnt vmcnt(0) lgkmcnt(0)
	flat_store_dwordx4 v[6:7], v[12:15] glc slc
	v_add_co_u32_e32 v6, vcc, 0x1000, v6
	v_addc_co_u32_e32 v7, vcc, 0, v7, vcc
	s_andn2_b64 exec, exec, s[12:13]
	s_cbranch_execnz .LBB3_16
.LBB3_17:
	s_or_b64 exec, exec, s[8:9]
	s_and_b32 s3, s14, 3
	s_cmp_eq_u32 s3, 0
	s_mov_b32 s15, 0
	s_cbranch_scc1 .LBB3_20
; %bb.18:
	s_and_b32 s8, s16, -4
	s_add_i32 s2, s8, s2
	s_mov_b32 s15, s3
	v_mov_b32_e32 v6, v1
	s_cbranch_execnz .LBB3_21
	s_branch .LBB3_28
.LBB3_19:
	s_mov_b32 s15, 0
	s_mov_b32 s2, 0
	v_mov_b32_e32 v6, v1
	s_branch .LBB3_28
.LBB3_20:
	v_mov_b32_e32 v6, v1
	s_branch .LBB3_28
.LBB3_21:
	s_and_b32 s16, s15, 0xfffffe00
	v_cmp_gt_i32_e32 vcc, s16, v6
	s_and_saveexec_b64 s[8:9], vcc
	s_cbranch_execz .LBB3_24
; %bb.22:
	s_ashr_i32 s3, s2, 31
	s_lshl_b64 s[12:13], s[2:3], 2
	v_mov_b32_e32 v1, s13
	v_add_co_u32_e32 v8, vcc, s12, v4
	v_mov_b32_e32 v7, 0
	v_addc_co_u32_e32 v9, vcc, v5, v1, vcc
	v_lshlrev_b64 v[10:11], 2, v[6:7]
	v_add_co_u32_e32 v8, vcc, v8, v10
	v_addc_co_u32_e32 v9, vcc, v9, v11, vcc
	v_add_co_u32_e32 v7, vcc, s12, v2
	v_addc_co_u32_e32 v1, vcc, v3, v1, vcc
	v_add_co_u32_e32 v10, vcc, v7, v10
	v_addc_co_u32_e32 v11, vcc, v1, v11, vcc
	s_mov_b64 s[12:13], 0
.LBB3_23:                               ; =>This Inner Loop Header: Depth=1
	flat_load_dword v1, v[10:11] glc slc
	flat_load_dword v7, v[10:11] offset:256 glc slc
	flat_load_dword v12, v[10:11] offset:512 glc slc
	;; [unrolled: 1-line block ×7, first 2 shown]
	v_add_co_u32_e32 v10, vcc, 0x2000, v10
	v_add_u32_e32 v6, 0x800, v6
	v_addc_co_u32_e32 v11, vcc, 0, v11, vcc
	v_cmp_le_i32_e32 vcc, s16, v6
	s_or_b64 s[12:13], vcc, s[12:13]
	s_waitcnt vmcnt(0) lgkmcnt(0)
	flat_store_dword v[8:9], v1 glc slc
	flat_store_dword v[8:9], v7 offset:256 glc slc
	flat_store_dword v[8:9], v12 offset:512 glc slc
	;; [unrolled: 1-line block ×7, first 2 shown]
	v_add_co_u32_e32 v8, vcc, 0x2000, v8
	v_addc_co_u32_e32 v9, vcc, 0, v9, vcc
	s_andn2_b64 exec, exec, s[12:13]
	s_cbranch_execnz .LBB3_23
.LBB3_24:
	s_or_b64 exec, exec, s[8:9]
	s_and_b32 s12, s15, 0x1ff
	v_cmp_gt_u32_e32 vcc, s12, v0
	s_and_saveexec_b64 s[8:9], vcc
	s_cbranch_execz .LBB3_27
; %bb.25:
	s_add_i32 s2, s16, s2
	s_ashr_i32 s3, s2, 31
	s_lshl_b64 s[2:3], s[2:3], 2
	v_mov_b32_e32 v1, s3
	v_add_co_u32_e32 v4, vcc, s2, v4
	v_addc_co_u32_e32 v5, vcc, v5, v1, vcc
	v_lshlrev_b32_e32 v6, 2, v0
	v_add_co_u32_e32 v4, vcc, v4, v6
	v_addc_co_u32_e32 v5, vcc, 0, v5, vcc
	v_add_co_u32_e32 v2, vcc, s2, v2
	v_addc_co_u32_e32 v1, vcc, v3, v1, vcc
	;; [unrolled: 2-line block ×3, first 2 shown]
	s_mov_b64 s[2:3], 0
.LBB3_26:                               ; =>This Inner Loop Header: Depth=1
	flat_load_dword v1, v[2:3] glc slc
	v_add_co_u32_e32 v2, vcc, 0x400, v2
	v_add_u32_e32 v0, 0x100, v0
	v_addc_co_u32_e32 v3, vcc, 0, v3, vcc
	v_cmp_le_u32_e32 vcc, s12, v0
	s_or_b64 s[2:3], vcc, s[2:3]
	s_waitcnt vmcnt(0) lgkmcnt(0)
	flat_store_dword v[4:5], v1 glc slc
	v_add_co_u32_e32 v4, vcc, 0x400, v4
	v_addc_co_u32_e32 v5, vcc, 0, v5, vcc
	s_andn2_b64 exec, exec, s[2:3]
	s_cbranch_execnz .LBB3_26
.LBB3_27:
	s_or_b64 exec, exec, s[8:9]
.LBB3_28:
	s_waitcnt lgkmcnt(0)
	s_barrier
	s_and_saveexec_b64 s[2:3], s[0:1]
	s_cbranch_execz .LBB3_33
; %bb.29:
	s_lshl_b64 s[0:1], s[6:7], 3
	s_memrealtime s[6:7]
	s_mov_b64 s[8:9], exec
	v_mbcnt_lo_u32_b32 v0, s8, 0
	s_add_u32 s0, s10, s0
	v_mbcnt_hi_u32_b32 v0, s9, v0
	s_addc_u32 s1, s11, s1
	v_cmp_eq_u32_e32 vcc, 0, v0
	s_and_saveexec_b64 s[2:3], vcc
	s_cbranch_execz .LBB3_31
; %bb.30:
	s_waitcnt lgkmcnt(0)
	s_sub_u32 s4, s6, s4
	s_subb_u32 s5, s7, s5
	s_bcnt1_i32_b64 s6, s[8:9]
	s_mul_i32 s5, s5, s6
	s_mul_hi_u32 s7, s4, s6
	s_add_i32 s7, s7, s5
	s_mul_i32 s4, s4, s6
	v_mov_b32_e32 v0, s4
	v_mov_b32_e32 v1, s7
	;; [unrolled: 1-line block ×3, first 2 shown]
	buffer_wbl2
	s_waitcnt vmcnt(0)
	global_atomic_add_x2 v2, v[0:1], s[0:1]
	s_waitcnt vmcnt(0)
	buffer_invl2
	buffer_wbinvl1_vol
.LBB3_31:
	s_or_b64 exec, exec, s[2:3]
	s_mov_b64 s[2:3], exec
	v_mbcnt_lo_u32_b32 v0, s2, 0
	v_mbcnt_hi_u32_b32 v0, s3, v0
	v_cmp_eq_u32_e32 vcc, 0, v0
	s_and_b64 s[4:5], exec, vcc
	s_mov_b64 exec, s[4:5]
	s_cbranch_execz .LBB3_33
; %bb.32:
	s_bcnt1_i32_b64 s2, s[2:3]
	s_mul_hi_i32 s3, s14, s2
	s_mul_i32 s2, s14, s2
	s_lshl_b64 s[2:3], s[2:3], 2
	v_mov_b32_e32 v2, 0
	v_pk_mov_b32 v[0:1], s[2:3], s[2:3] op_sel:[0,1]
	buffer_wbl2
	s_waitcnt vmcnt(0) lgkmcnt(0)
	global_atomic_add_x2 v2, v[0:1], s[0:1] offset:448
	s_waitcnt vmcnt(0)
	buffer_invl2
	buffer_wbinvl1_vol
.LBB3_33:
	s_endpgm
	.section	.rodata,"a",@progbits
	.p2align	6, 0x0
	.amdhsa_kernel _Z16flag_sync_kernelILi1ELi0EEvP15transfer_data_tP16profiling_data_tm
		.amdhsa_group_segment_fixed_size 0
		.amdhsa_private_segment_fixed_size 0
		.amdhsa_kernarg_size 24
		.amdhsa_user_sgpr_count 6
		.amdhsa_user_sgpr_private_segment_buffer 1
		.amdhsa_user_sgpr_dispatch_ptr 0
		.amdhsa_user_sgpr_queue_ptr 0
		.amdhsa_user_sgpr_kernarg_segment_ptr 1
		.amdhsa_user_sgpr_dispatch_id 0
		.amdhsa_user_sgpr_flat_scratch_init 0
		.amdhsa_user_sgpr_kernarg_preload_length 0
		.amdhsa_user_sgpr_kernarg_preload_offset 0
		.amdhsa_user_sgpr_private_segment_size 0
		.amdhsa_uses_dynamic_stack 0
		.amdhsa_system_sgpr_private_segment_wavefront_offset 0
		.amdhsa_system_sgpr_workgroup_id_x 1
		.amdhsa_system_sgpr_workgroup_id_y 0
		.amdhsa_system_sgpr_workgroup_id_z 0
		.amdhsa_system_sgpr_workgroup_info 0
		.amdhsa_system_vgpr_workitem_id 0
		.amdhsa_next_free_vgpr 48
		.amdhsa_next_free_sgpr 18
		.amdhsa_accum_offset 48
		.amdhsa_reserve_vcc 1
		.amdhsa_reserve_flat_scratch 0
		.amdhsa_float_round_mode_32 0
		.amdhsa_float_round_mode_16_64 0
		.amdhsa_float_denorm_mode_32 3
		.amdhsa_float_denorm_mode_16_64 3
		.amdhsa_dx10_clamp 1
		.amdhsa_ieee_mode 1
		.amdhsa_fp16_overflow 0
		.amdhsa_tg_split 0
		.amdhsa_exception_fp_ieee_invalid_op 0
		.amdhsa_exception_fp_denorm_src 0
		.amdhsa_exception_fp_ieee_div_zero 0
		.amdhsa_exception_fp_ieee_overflow 0
		.amdhsa_exception_fp_ieee_underflow 0
		.amdhsa_exception_fp_ieee_inexact 0
		.amdhsa_exception_int_div_zero 0
	.end_amdhsa_kernel
	.section	.text._Z16flag_sync_kernelILi1ELi0EEvP15transfer_data_tP16profiling_data_tm,"axG",@progbits,_Z16flag_sync_kernelILi1ELi0EEvP15transfer_data_tP16profiling_data_tm,comdat
.Lfunc_end3:
	.size	_Z16flag_sync_kernelILi1ELi0EEvP15transfer_data_tP16profiling_data_tm, .Lfunc_end3-_Z16flag_sync_kernelILi1ELi0EEvP15transfer_data_tP16profiling_data_tm
                                        ; -- End function
	.section	.AMDGPU.csdata,"",@progbits
; Kernel info:
; codeLenInByte = 1492
; NumSgprs: 22
; NumVgprs: 48
; NumAgprs: 0
; TotalNumVgprs: 48
; ScratchSize: 0
; MemoryBound: 0
; FloatMode: 240
; IeeeMode: 1
; LDSByteSize: 0 bytes/workgroup (compile time only)
; SGPRBlocks: 2
; VGPRBlocks: 5
; NumSGPRsForWavesPerEU: 22
; NumVGPRsForWavesPerEU: 48
; AccumOffset: 48
; Occupancy: 8
; WaveLimiterHint : 1
; COMPUTE_PGM_RSRC2:SCRATCH_EN: 0
; COMPUTE_PGM_RSRC2:USER_SGPR: 6
; COMPUTE_PGM_RSRC2:TRAP_HANDLER: 0
; COMPUTE_PGM_RSRC2:TGID_X_EN: 1
; COMPUTE_PGM_RSRC2:TGID_Y_EN: 0
; COMPUTE_PGM_RSRC2:TGID_Z_EN: 0
; COMPUTE_PGM_RSRC2:TIDIG_COMP_CNT: 0
; COMPUTE_PGM_RSRC3_GFX90A:ACCUM_OFFSET: 11
; COMPUTE_PGM_RSRC3_GFX90A:TG_SPLIT: 0
	.section	.text._Z16flag_sync_kernelILi1ELi1EEvP15transfer_data_tP16profiling_data_tm,"axG",@progbits,_Z16flag_sync_kernelILi1ELi1EEvP15transfer_data_tP16profiling_data_tm,comdat
	.protected	_Z16flag_sync_kernelILi1ELi1EEvP15transfer_data_tP16profiling_data_tm ; -- Begin function _Z16flag_sync_kernelILi1ELi1EEvP15transfer_data_tP16profiling_data_tm
	.globl	_Z16flag_sync_kernelILi1ELi1EEvP15transfer_data_tP16profiling_data_tm
	.p2align	8
	.type	_Z16flag_sync_kernelILi1ELi1EEvP15transfer_data_tP16profiling_data_tm,@function
_Z16flag_sync_kernelILi1ELi1EEvP15transfer_data_tP16profiling_data_tm: ; @_Z16flag_sync_kernelILi1ELi1EEvP15transfer_data_tP16profiling_data_tm
; %bb.0:
	s_load_dwordx4 s[8:11], s[4:5], 0x0
	s_load_dwordx2 s[2:3], s[4:5], 0x10
	v_cmp_eq_u32_e64 s[0:1], 0, v0
	s_waitcnt lgkmcnt(0)
	s_load_dword s18, s[8:9], 0x8c0
	s_and_saveexec_b64 s[4:5], s[0:1]
	s_cbranch_execz .LBB4_8
; %bb.1:
	s_mov_b64 s[14:15], exec
	v_mbcnt_lo_u32_b32 v1, s14, 0
	v_mbcnt_hi_u32_b32 v1, s15, v1
	v_cmp_eq_u32_e32 vcc, 0, v1
	s_and_saveexec_b64 s[12:13], vcc
	s_cbranch_execz .LBB4_3
; %bb.2:
	s_load_dword s16, s[8:9], 0x8c4
	s_load_dwordx2 s[20:21], s[8:9], 0x8d0
	v_mov_b32_e32 v3, 0
	s_waitcnt lgkmcnt(0)
	s_ashr_i32 s17, s16, 31
	s_lshl_b64 s[16:17], s[16:17], 3
	s_add_u32 s16, s20, s16
	s_addc_u32 s17, s21, s17
	s_bcnt1_i32_b64 s7, s[14:15]
	v_mov_b32_e32 v2, s7
	buffer_wbl2
	global_atomic_add_x2 v3, v[2:3], s[16:17]
	s_waitcnt vmcnt(0)
	buffer_invl2
	buffer_wbinvl1_vol
.LBB4_3:
	s_or_b64 exec, exec, s[12:13]
	v_mov_b32_e32 v1, 0
	global_load_dword v2, v1, s[8:9] offset:2248
	s_waitcnt vmcnt(0)
	v_cmp_gt_i32_e32 vcc, 1, v2
	s_cbranch_vccnz .LBB4_8
; %bb.4:
	s_mov_b32 s13, 0
	s_mov_b32 s12, s13
.LBB4_5:                                ; =>This Loop Header: Depth=1
                                        ;     Child Loop BB4_6 Depth 2
	s_lshl_b64 s[16:17], s[12:13], 3
	s_mov_b64 s[14:15], 0
	v_mov_b32_e32 v2, s17
.LBB4_6:                                ;   Parent Loop BB4_5 Depth=1
                                        ; =>  This Inner Loop Header: Depth=2
	global_load_dwordx2 v[4:5], v1, s[8:9] offset:2256
	s_waitcnt vmcnt(0)
	v_add_co_u32_e32 v4, vcc, s16, v4
	v_addc_co_u32_e32 v5, vcc, v5, v2, vcc
	s_waitcnt lgkmcnt(0)
	flat_load_dwordx2 v[4:5], v[4:5] glc
	s_waitcnt vmcnt(0) lgkmcnt(0)
	buffer_invl2
	buffer_wbinvl1_vol
	v_cmp_le_u64_e32 vcc, s[2:3], v[4:5]
	s_or_b64 s[14:15], vcc, s[14:15]
	s_andn2_b64 exec, exec, s[14:15]
	s_cbranch_execnz .LBB4_6
; %bb.7:                                ;   in Loop: Header=BB4_5 Depth=1
	s_or_b64 exec, exec, s[14:15]
	global_load_dword v2, v1, s[8:9] offset:2248
	s_add_i32 s12, s12, 1
	s_waitcnt vmcnt(0)
	v_cmp_lt_i32_e32 vcc, s12, v2
	s_cbranch_vccnz .LBB4_5
.LBB4_8:
	s_or_b64 exec, exec, s[4:5]
	s_waitcnt lgkmcnt(0)
	s_barrier
	s_waitcnt lgkmcnt(0)
                                        ; implicit-def: $sgpr4_sgpr5
	s_and_saveexec_b64 s[2:3], s[0:1]
	s_cbranch_execz .LBB4_10
; %bb.9:
	s_memrealtime s[4:5]
.LBB4_10:
	s_or_b64 exec, exec, s[2:3]
	s_ashr_i32 s7, s6, 31
	s_cmp_lt_i32 s18, 1
	s_cbranch_scc1 .LBB4_33
; %bb.11:
	s_lshl_b64 s[2:3], s[6:7], 3
	s_add_u32 s2, s8, s2
	s_addc_u32 s3, s9, s3
	v_mov_b32_e32 v1, 0
	global_load_dwordx2 v[2:3], v1, s[2:3] offset:448
	global_load_dwordx2 v[4:5], v1, s[2:3] offset:896
	v_lshrrev_b32_e32 v6, 6, v0
	v_and_b32_e32 v7, 63, v0
	s_mov_b32 s2, 0
	s_waitcnt vmcnt(0)
	v_or_b32_e32 v1, v4, v2
	v_and_b32_e32 v1, 3, v1
	v_cmp_eq_u32_e32 vcc, 0, v1
	v_lshl_or_b32 v1, v6, 9, v7
	s_cbranch_vccnz .LBB4_14
; %bb.12:
	v_lshl_or_b32 v6, v6, 9, v7
	s_mov_b64 s[8:9], -1
	s_mov_b32 s14, s18
	s_cbranch_execz .LBB4_15
; %bb.13:
	s_and_b64 vcc, exec, s[8:9]
	s_cbranch_vccnz .LBB4_26
	s_branch .LBB4_33
.LBB4_14:
	s_mov_b64 s[8:9], 0
                                        ; implicit-def: $sgpr2
                                        ; implicit-def: $vgpr6
	s_mov_b32 s14, s18
.LBB4_15:
	s_lshr_b32 s2, s18, 2
	s_and_b32 s14, s2, 0x1ffffe00
	v_cmp_gt_u32_e32 vcc, s14, v1
	s_and_saveexec_b64 s[8:9], vcc
	s_cbranch_execz .LBB4_18
; %bb.16:
	v_lshlrev_b32_e32 v8, 4, v1
	v_add_co_u32_e32 v6, vcc, v4, v8
	v_addc_co_u32_e32 v7, vcc, 0, v5, vcc
	v_add_co_u32_e32 v8, vcc, v2, v8
	v_addc_co_u32_e32 v9, vcc, 0, v3, vcc
	s_mov_b64 s[12:13], 0
	s_movk_i32 s15, 0x1000
	v_mov_b32_e32 v10, v1
.LBB4_17:                               ; =>This Inner Loop Header: Depth=1
	flat_load_dwordx4 v[12:15], v[8:9] glc slc
	flat_load_dwordx4 v[16:19], v[8:9] offset:1024 glc slc
	flat_load_dwordx4 v[20:23], v[8:9] offset:2048 glc slc
	;; [unrolled: 1-line block ×3, first 2 shown]
	v_add_co_u32_e32 v44, vcc, 0x1000, v8
	s_mov_b64 s[2:3], vcc
	v_addc_co_u32_e32 v47, vcc, 0, v9, vcc
	v_mov_b32_e32 v46, v44
	v_addc_co_u32_e64 v45, s[2:3], 0, v9, s[2:3]
	flat_load_dwordx4 v[28:31], v[46:47] glc slc
	flat_load_dwordx4 v[32:35], v[44:45] offset:1024 glc slc
	flat_load_dwordx4 v[36:39], v[44:45] offset:2048 glc slc
	;; [unrolled: 1-line block ×3, first 2 shown]
	v_add_co_u32_e32 v44, vcc, s15, v6
	v_addc_co_u32_e32 v45, vcc, 0, v7, vcc
	v_add_co_u32_e32 v8, vcc, 0x8000, v8
	v_add_u32_e32 v10, 0x800, v10
	v_addc_co_u32_e32 v9, vcc, 0, v9, vcc
	v_cmp_le_u32_e64 s[2:3], s14, v10
	s_or_b64 s[12:13], s[2:3], s[12:13]
	s_waitcnt vmcnt(0) lgkmcnt(0)
	flat_store_dwordx4 v[6:7], v[12:15] glc slc
	flat_store_dwordx4 v[6:7], v[16:19] offset:1024 glc slc
	flat_store_dwordx4 v[6:7], v[20:23] offset:2048 glc slc
	;; [unrolled: 1-line block ×3, first 2 shown]
	v_add_co_u32_e32 v6, vcc, 0x8000, v6
	v_addc_co_u32_e32 v7, vcc, 0, v7, vcc
	flat_store_dwordx4 v[44:45], v[28:31] glc slc
	flat_store_dwordx4 v[44:45], v[32:35] offset:1024 glc slc
	flat_store_dwordx4 v[44:45], v[36:39] offset:2048 glc slc
	;; [unrolled: 1-line block ×3, first 2 shown]
	s_andn2_b64 exec, exec, s[12:13]
	s_cbranch_execnz .LBB4_17
.LBB4_18:
	s_or_b64 exec, exec, s[8:9]
	s_lshl_b32 s2, s14, 2
	s_cmp_eq_u32 s18, s2
	s_cbranch_scc1 .LBB4_24
; %bb.19:
	s_sub_i32 s15, s18, s2
	s_ashr_i32 s14, s15, 2
	v_cmp_gt_i32_e32 vcc, s14, v0
	s_and_saveexec_b64 s[8:9], vcc
	s_cbranch_execz .LBB4_22
; %bb.20:
	s_mov_b32 s3, 0
	s_lshl_b64 s[12:13], s[2:3], 2
	v_mov_b32_e32 v8, s13
	v_add_co_u32_e32 v6, vcc, s12, v4
	v_addc_co_u32_e32 v7, vcc, v5, v8, vcc
	v_lshlrev_b32_e32 v9, 4, v0
	v_add_co_u32_e32 v6, vcc, v6, v9
	v_addc_co_u32_e32 v7, vcc, 0, v7, vcc
	v_add_co_u32_e32 v10, vcc, s12, v2
	v_addc_co_u32_e32 v11, vcc, v3, v8, vcc
	;; [unrolled: 2-line block ×3, first 2 shown]
	s_mov_b64 s[12:13], 0
	v_mov_b32_e32 v10, v0
.LBB4_21:                               ; =>This Inner Loop Header: Depth=1
	flat_load_dwordx4 v[12:15], v[8:9] glc slc
	v_add_co_u32_e32 v8, vcc, 0x1000, v8
	v_add_u32_e32 v10, 0x100, v10
	v_addc_co_u32_e32 v9, vcc, 0, v9, vcc
	v_cmp_le_i32_e32 vcc, s14, v10
	s_or_b64 s[12:13], vcc, s[12:13]
	s_waitcnt vmcnt(0) lgkmcnt(0)
	flat_store_dwordx4 v[6:7], v[12:15] glc slc
	v_add_co_u32_e32 v6, vcc, 0x1000, v6
	v_addc_co_u32_e32 v7, vcc, 0, v7, vcc
	s_andn2_b64 exec, exec, s[12:13]
	s_cbranch_execnz .LBB4_21
.LBB4_22:
	s_or_b64 exec, exec, s[8:9]
	s_and_b32 s3, s18, 3
	s_cmp_eq_u32 s3, 0
	s_mov_b32 s14, 0
	s_cbranch_scc1 .LBB4_25
; %bb.23:
	s_and_b32 s8, s15, -4
	s_add_i32 s2, s8, s2
	s_mov_b32 s14, s3
	v_mov_b32_e32 v6, v1
	s_cbranch_execnz .LBB4_26
	s_branch .LBB4_33
.LBB4_24:
	s_mov_b32 s14, 0
	s_mov_b32 s2, 0
	v_mov_b32_e32 v6, v1
	s_branch .LBB4_33
.LBB4_25:
	v_mov_b32_e32 v6, v1
	s_branch .LBB4_33
.LBB4_26:
	s_and_b32 s15, s14, 0xfffffe00
	v_cmp_gt_i32_e32 vcc, s15, v6
	s_and_saveexec_b64 s[8:9], vcc
	s_cbranch_execz .LBB4_29
; %bb.27:
	s_ashr_i32 s3, s2, 31
	s_lshl_b64 s[12:13], s[2:3], 2
	v_mov_b32_e32 v1, s13
	v_add_co_u32_e32 v8, vcc, s12, v4
	v_mov_b32_e32 v7, 0
	v_addc_co_u32_e32 v9, vcc, v5, v1, vcc
	v_lshlrev_b64 v[10:11], 2, v[6:7]
	v_add_co_u32_e32 v8, vcc, v8, v10
	v_addc_co_u32_e32 v9, vcc, v9, v11, vcc
	v_add_co_u32_e32 v7, vcc, s12, v2
	v_addc_co_u32_e32 v1, vcc, v3, v1, vcc
	;; [unrolled: 2-line block ×3, first 2 shown]
	s_mov_b64 s[12:13], 0
.LBB4_28:                               ; =>This Inner Loop Header: Depth=1
	flat_load_dword v1, v[10:11] glc slc
	flat_load_dword v7, v[10:11] offset:256 glc slc
	flat_load_dword v12, v[10:11] offset:512 glc slc
	;; [unrolled: 1-line block ×7, first 2 shown]
	v_add_co_u32_e32 v10, vcc, 0x2000, v10
	v_add_u32_e32 v6, 0x800, v6
	v_addc_co_u32_e32 v11, vcc, 0, v11, vcc
	v_cmp_le_i32_e32 vcc, s15, v6
	s_or_b64 s[12:13], vcc, s[12:13]
	s_waitcnt vmcnt(0) lgkmcnt(0)
	flat_store_dword v[8:9], v1 glc slc
	flat_store_dword v[8:9], v7 offset:256 glc slc
	flat_store_dword v[8:9], v12 offset:512 glc slc
	;; [unrolled: 1-line block ×7, first 2 shown]
	v_add_co_u32_e32 v8, vcc, 0x2000, v8
	v_addc_co_u32_e32 v9, vcc, 0, v9, vcc
	s_andn2_b64 exec, exec, s[12:13]
	s_cbranch_execnz .LBB4_28
.LBB4_29:
	s_or_b64 exec, exec, s[8:9]
	s_and_b32 s12, s14, 0x1ff
	v_cmp_gt_u32_e32 vcc, s12, v0
	s_and_saveexec_b64 s[8:9], vcc
	s_cbranch_execz .LBB4_32
; %bb.30:
	s_add_i32 s2, s15, s2
	s_ashr_i32 s3, s2, 31
	s_lshl_b64 s[2:3], s[2:3], 2
	v_mov_b32_e32 v1, s3
	v_add_co_u32_e32 v4, vcc, s2, v4
	v_addc_co_u32_e32 v5, vcc, v5, v1, vcc
	v_lshlrev_b32_e32 v6, 2, v0
	v_add_co_u32_e32 v4, vcc, v4, v6
	v_addc_co_u32_e32 v5, vcc, 0, v5, vcc
	v_add_co_u32_e32 v2, vcc, s2, v2
	v_addc_co_u32_e32 v1, vcc, v3, v1, vcc
	;; [unrolled: 2-line block ×3, first 2 shown]
	s_mov_b64 s[2:3], 0
.LBB4_31:                               ; =>This Inner Loop Header: Depth=1
	flat_load_dword v1, v[2:3] glc slc
	v_add_co_u32_e32 v2, vcc, 0x400, v2
	v_add_u32_e32 v0, 0x100, v0
	v_addc_co_u32_e32 v3, vcc, 0, v3, vcc
	v_cmp_le_u32_e32 vcc, s12, v0
	s_or_b64 s[2:3], vcc, s[2:3]
	s_waitcnt vmcnt(0) lgkmcnt(0)
	flat_store_dword v[4:5], v1 glc slc
	v_add_co_u32_e32 v4, vcc, 0x400, v4
	v_addc_co_u32_e32 v5, vcc, 0, v5, vcc
	s_andn2_b64 exec, exec, s[2:3]
	s_cbranch_execnz .LBB4_31
.LBB4_32:
	s_or_b64 exec, exec, s[8:9]
.LBB4_33:
	s_waitcnt lgkmcnt(0)
	s_barrier
	s_and_saveexec_b64 s[2:3], s[0:1]
	s_cbranch_execz .LBB4_38
; %bb.34:
	s_lshl_b64 s[0:1], s[6:7], 3
	s_memrealtime s[6:7]
	s_mov_b64 s[8:9], exec
	v_mbcnt_lo_u32_b32 v0, s8, 0
	s_add_u32 s0, s10, s0
	v_mbcnt_hi_u32_b32 v0, s9, v0
	s_addc_u32 s1, s11, s1
	v_cmp_eq_u32_e32 vcc, 0, v0
	s_and_saveexec_b64 s[2:3], vcc
	s_cbranch_execz .LBB4_36
; %bb.35:
	s_waitcnt lgkmcnt(0)
	s_sub_u32 s4, s6, s4
	s_subb_u32 s5, s7, s5
	s_bcnt1_i32_b64 s6, s[8:9]
	s_mul_i32 s5, s5, s6
	s_mul_hi_u32 s7, s4, s6
	s_add_i32 s7, s7, s5
	s_mul_i32 s4, s4, s6
	v_mov_b32_e32 v0, s4
	v_mov_b32_e32 v1, s7
	;; [unrolled: 1-line block ×3, first 2 shown]
	buffer_wbl2
	s_waitcnt vmcnt(0)
	global_atomic_add_x2 v2, v[0:1], s[0:1]
	s_waitcnt vmcnt(0)
	buffer_invl2
	buffer_wbinvl1_vol
.LBB4_36:
	s_or_b64 exec, exec, s[2:3]
	s_mov_b64 s[2:3], exec
	v_mbcnt_lo_u32_b32 v0, s2, 0
	v_mbcnt_hi_u32_b32 v0, s3, v0
	v_cmp_eq_u32_e32 vcc, 0, v0
	s_and_b64 s[4:5], exec, vcc
	s_mov_b64 exec, s[4:5]
	s_cbranch_execz .LBB4_38
; %bb.37:
	s_bcnt1_i32_b64 s2, s[2:3]
	s_mul_hi_i32 s3, s18, s2
	s_mul_i32 s2, s18, s2
	s_lshl_b64 s[2:3], s[2:3], 2
	v_mov_b32_e32 v2, 0
	v_pk_mov_b32 v[0:1], s[2:3], s[2:3] op_sel:[0,1]
	buffer_wbl2
	s_waitcnt vmcnt(0) lgkmcnt(0)
	global_atomic_add_x2 v2, v[0:1], s[0:1] offset:448
	s_waitcnt vmcnt(0)
	buffer_invl2
	buffer_wbinvl1_vol
.LBB4_38:
	s_endpgm
	.section	.rodata,"a",@progbits
	.p2align	6, 0x0
	.amdhsa_kernel _Z16flag_sync_kernelILi1ELi1EEvP15transfer_data_tP16profiling_data_tm
		.amdhsa_group_segment_fixed_size 0
		.amdhsa_private_segment_fixed_size 0
		.amdhsa_kernarg_size 24
		.amdhsa_user_sgpr_count 6
		.amdhsa_user_sgpr_private_segment_buffer 1
		.amdhsa_user_sgpr_dispatch_ptr 0
		.amdhsa_user_sgpr_queue_ptr 0
		.amdhsa_user_sgpr_kernarg_segment_ptr 1
		.amdhsa_user_sgpr_dispatch_id 0
		.amdhsa_user_sgpr_flat_scratch_init 0
		.amdhsa_user_sgpr_kernarg_preload_length 0
		.amdhsa_user_sgpr_kernarg_preload_offset 0
		.amdhsa_user_sgpr_private_segment_size 0
		.amdhsa_uses_dynamic_stack 0
		.amdhsa_system_sgpr_private_segment_wavefront_offset 0
		.amdhsa_system_sgpr_workgroup_id_x 1
		.amdhsa_system_sgpr_workgroup_id_y 0
		.amdhsa_system_sgpr_workgroup_id_z 0
		.amdhsa_system_sgpr_workgroup_info 0
		.amdhsa_system_vgpr_workitem_id 0
		.amdhsa_next_free_vgpr 48
		.amdhsa_next_free_sgpr 22
		.amdhsa_accum_offset 48
		.amdhsa_reserve_vcc 1
		.amdhsa_reserve_flat_scratch 0
		.amdhsa_float_round_mode_32 0
		.amdhsa_float_round_mode_16_64 0
		.amdhsa_float_denorm_mode_32 3
		.amdhsa_float_denorm_mode_16_64 3
		.amdhsa_dx10_clamp 1
		.amdhsa_ieee_mode 1
		.amdhsa_fp16_overflow 0
		.amdhsa_tg_split 0
		.amdhsa_exception_fp_ieee_invalid_op 0
		.amdhsa_exception_fp_denorm_src 0
		.amdhsa_exception_fp_ieee_div_zero 0
		.amdhsa_exception_fp_ieee_overflow 0
		.amdhsa_exception_fp_ieee_underflow 0
		.amdhsa_exception_fp_ieee_inexact 0
		.amdhsa_exception_int_div_zero 0
	.end_amdhsa_kernel
	.section	.text._Z16flag_sync_kernelILi1ELi1EEvP15transfer_data_tP16profiling_data_tm,"axG",@progbits,_Z16flag_sync_kernelILi1ELi1EEvP15transfer_data_tP16profiling_data_tm,comdat
.Lfunc_end4:
	.size	_Z16flag_sync_kernelILi1ELi1EEvP15transfer_data_tP16profiling_data_tm, .Lfunc_end4-_Z16flag_sync_kernelILi1ELi1EEvP15transfer_data_tP16profiling_data_tm
                                        ; -- End function
	.section	.AMDGPU.csdata,"",@progbits
; Kernel info:
; codeLenInByte = 1644
; NumSgprs: 26
; NumVgprs: 48
; NumAgprs: 0
; TotalNumVgprs: 48
; ScratchSize: 0
; MemoryBound: 0
; FloatMode: 240
; IeeeMode: 1
; LDSByteSize: 0 bytes/workgroup (compile time only)
; SGPRBlocks: 3
; VGPRBlocks: 5
; NumSGPRsForWavesPerEU: 26
; NumVGPRsForWavesPerEU: 48
; AccumOffset: 48
; Occupancy: 8
; WaveLimiterHint : 1
; COMPUTE_PGM_RSRC2:SCRATCH_EN: 0
; COMPUTE_PGM_RSRC2:USER_SGPR: 6
; COMPUTE_PGM_RSRC2:TRAP_HANDLER: 0
; COMPUTE_PGM_RSRC2:TGID_X_EN: 1
; COMPUTE_PGM_RSRC2:TGID_Y_EN: 0
; COMPUTE_PGM_RSRC2:TGID_Z_EN: 0
; COMPUTE_PGM_RSRC2:TIDIG_COMP_CNT: 0
; COMPUTE_PGM_RSRC3_GFX90A:ACCUM_OFFSET: 11
; COMPUTE_PGM_RSRC3_GFX90A:TG_SPLIT: 0
	.section	.text._Z16flag_sync_kernelILi2ELi0EEvP15transfer_data_tP16profiling_data_tm,"axG",@progbits,_Z16flag_sync_kernelILi2ELi0EEvP15transfer_data_tP16profiling_data_tm,comdat
	.protected	_Z16flag_sync_kernelILi2ELi0EEvP15transfer_data_tP16profiling_data_tm ; -- Begin function _Z16flag_sync_kernelILi2ELi0EEvP15transfer_data_tP16profiling_data_tm
	.globl	_Z16flag_sync_kernelILi2ELi0EEvP15transfer_data_tP16profiling_data_tm
	.p2align	8
	.type	_Z16flag_sync_kernelILi2ELi0EEvP15transfer_data_tP16profiling_data_tm,@function
_Z16flag_sync_kernelILi2ELi0EEvP15transfer_data_tP16profiling_data_tm: ; @_Z16flag_sync_kernelILi2ELi0EEvP15transfer_data_tP16profiling_data_tm
; %bb.0:
	s_load_dwordx4 s[8:11], s[4:5], 0x0
	v_cmp_eq_u32_e64 s[0:1], 0, v0
	s_waitcnt lgkmcnt(0)
	s_load_dword s14, s[8:9], 0x8c0
	s_and_saveexec_b64 s[2:3], s[0:1]
	s_cbranch_execz .LBB5_3
; %bb.1:
	s_mov_b64 s[4:5], exec
	v_mbcnt_lo_u32_b32 v1, s4, 0
	v_mbcnt_hi_u32_b32 v1, s5, v1
	v_cmp_eq_u32_e32 vcc, 0, v1
	s_and_b64 s[12:13], exec, vcc
	s_mov_b64 exec, s[12:13]
	s_cbranch_execz .LBB5_3
; %bb.2:
	s_load_dword s12, s[8:9], 0x8c4
	s_load_dwordx2 s[16:17], s[8:9], 0x8d0
	v_mov_b32_e32 v3, 0
	s_waitcnt lgkmcnt(0)
	s_ashr_i32 s13, s12, 31
	s_lshl_b64 s[12:13], s[12:13], 3
	s_add_u32 s12, s16, s12
	s_addc_u32 s13, s17, s13
	s_bcnt1_i32_b64 s4, s[4:5]
	v_mov_b32_e32 v2, s4
	buffer_wbl2
	global_atomic_add_x2 v3, v[2:3], s[12:13]
	s_waitcnt vmcnt(0)
	buffer_invl2
	buffer_wbinvl1_vol
.LBB5_3:
	s_or_b64 exec, exec, s[2:3]
	s_waitcnt lgkmcnt(0)
	s_barrier
	s_waitcnt lgkmcnt(0)
                                        ; implicit-def: $sgpr2_sgpr3
	s_and_saveexec_b64 s[4:5], s[0:1]
	s_cbranch_execz .LBB5_5
; %bb.4:
	s_memrealtime s[2:3]
.LBB5_5:
	s_or_b64 exec, exec, s[4:5]
	s_ashr_i32 s7, s6, 31
	s_cmp_lt_i32 s14, 1
	s_cbranch_scc1 .LBB5_27
; %bb.6:
	s_lshl_b64 s[4:5], s[6:7], 3
	s_add_u32 s4, s8, s4
	s_addc_u32 s5, s9, s5
	v_mov_b32_e32 v1, 0
	global_load_dwordx2 v[2:3], v1, s[4:5] offset:896
	global_load_dwordx2 v[6:7], v1, s[4:5] offset:448
	global_load_dwordx2 v[4:5], v1, s[4:5]
	v_lshrrev_b32_e32 v8, 6, v0
	v_and_b32_e32 v9, 63, v0
	s_mov_b32 s4, 0
	s_waitcnt vmcnt(0)
	v_or_b32_e32 v1, v4, v6
	v_or_b32_e32 v1, v1, v2
	v_and_b32_e32 v1, 3, v1
	v_cmp_eq_u32_e32 vcc, 0, v1
	v_lshl_or_b32 v1, v8, 8, v9
	s_cbranch_vccnz .LBB5_9
; %bb.7:
	v_lshl_or_b32 v8, v8, 8, v9
	s_mov_b64 s[8:9], -1
	s_mov_b32 s15, s14
	s_cbranch_execz .LBB5_10
; %bb.8:
	s_and_b64 vcc, exec, s[8:9]
	s_cbranch_vccnz .LBB5_21
	s_branch .LBB5_27
.LBB5_9:
	s_mov_b64 s[8:9], 0
                                        ; implicit-def: $sgpr15
                                        ; implicit-def: $sgpr4
                                        ; implicit-def: $vgpr8
.LBB5_10:
	s_lshr_b32 s4, s14, 2
	s_and_b32 s12, s4, 0x1fffff00
	v_cmp_gt_u32_e32 vcc, s12, v1
	s_and_saveexec_b64 s[4:5], vcc
	s_cbranch_execz .LBB5_13
; %bb.11:
	v_lshlrev_b32_e32 v12, 4, v1
	v_add_co_u32_e32 v8, vcc, v6, v12
	v_addc_co_u32_e32 v9, vcc, 0, v7, vcc
	v_add_co_u32_e32 v10, vcc, v4, v12
	v_addc_co_u32_e32 v11, vcc, 0, v5, vcc
	;; [unrolled: 2-line block ×3, first 2 shown]
	s_mov_b64 s[8:9], 0
	s_movk_i32 s13, 0x4000
	v_mov_b32_e32 v14, v1
.LBB5_12:                               ; =>This Inner Loop Header: Depth=1
	flat_load_dwordx4 v[16:19], v[8:9] glc slc
	flat_load_dwordx4 v[20:23], v[8:9] offset:1024 glc slc
	flat_load_dwordx4 v[24:27], v[8:9] offset:2048 glc slc
	;; [unrolled: 1-line block ×3, first 2 shown]
	v_add_u32_e32 v14, 0x400, v14
	v_cmp_le_u32_e32 vcc, s12, v14
	s_or_b64 s[8:9], vcc, s[8:9]
	s_waitcnt vmcnt(0) lgkmcnt(0)
	flat_store_dwordx4 v[10:11], v[16:19] glc slc
	flat_store_dwordx4 v[10:11], v[20:23] offset:1024 glc slc
	flat_store_dwordx4 v[10:11], v[24:27] offset:2048 glc slc
	;; [unrolled: 1-line block ×3, first 2 shown]
	flat_store_dwordx4 v[12:13], v[16:19] glc slc
	flat_store_dwordx4 v[12:13], v[20:23] offset:1024 glc slc
	flat_store_dwordx4 v[12:13], v[24:27] offset:2048 glc slc
	;; [unrolled: 1-line block ×3, first 2 shown]
	v_add_co_u32_e32 v10, vcc, s13, v10
	v_addc_co_u32_e32 v11, vcc, 0, v11, vcc
	v_add_co_u32_e32 v12, vcc, 0x4000, v12
	v_addc_co_u32_e32 v13, vcc, 0, v13, vcc
	;; [unrolled: 2-line block ×3, first 2 shown]
	s_andn2_b64 exec, exec, s[8:9]
	s_cbranch_execnz .LBB5_12
.LBB5_13:
	s_or_b64 exec, exec, s[4:5]
	s_lshl_b32 s4, s12, 2
	s_cmp_eq_u32 s14, s4
	s_cbranch_scc1 .LBB5_19
; %bb.14:
	s_sub_i32 s16, s14, s4
	s_ashr_i32 s15, s16, 2
	v_cmp_gt_i32_e32 vcc, s15, v0
	s_and_saveexec_b64 s[8:9], vcc
	s_cbranch_execz .LBB5_17
; %bb.15:
	s_mov_b32 s5, 0
	s_lshl_b64 s[12:13], s[4:5], 2
	v_mov_b32_e32 v12, s13
	v_add_co_u32_e32 v8, vcc, s12, v6
	v_addc_co_u32_e32 v9, vcc, v7, v12, vcc
	v_lshlrev_b32_e32 v13, 4, v0
	v_add_co_u32_e32 v8, vcc, v8, v13
	v_addc_co_u32_e32 v9, vcc, 0, v9, vcc
	v_add_co_u32_e32 v10, vcc, s12, v4
	v_addc_co_u32_e32 v11, vcc, v5, v12, vcc
	v_add_co_u32_e32 v10, vcc, v10, v13
	v_addc_co_u32_e32 v11, vcc, 0, v11, vcc
	v_add_co_u32_e32 v14, vcc, s12, v2
	v_addc_co_u32_e32 v15, vcc, v3, v12, vcc
	v_add_co_u32_e32 v12, vcc, v14, v13
	v_addc_co_u32_e32 v13, vcc, 0, v15, vcc
	s_mov_b64 s[12:13], 0
	v_mov_b32_e32 v14, v0
.LBB5_16:                               ; =>This Inner Loop Header: Depth=1
	flat_load_dwordx4 v[16:19], v[8:9] glc slc
	v_add_u32_e32 v14, 0x100, v14
	v_cmp_le_i32_e32 vcc, s15, v14
	s_or_b64 s[12:13], vcc, s[12:13]
	s_waitcnt vmcnt(0) lgkmcnt(0)
	flat_store_dwordx4 v[10:11], v[16:19] glc slc
	flat_store_dwordx4 v[12:13], v[16:19] glc slc
	v_add_co_u32_e32 v10, vcc, 0x1000, v10
	v_addc_co_u32_e32 v11, vcc, 0, v11, vcc
	v_add_co_u32_e32 v12, vcc, 0x1000, v12
	v_addc_co_u32_e32 v13, vcc, 0, v13, vcc
	;; [unrolled: 2-line block ×3, first 2 shown]
	s_andn2_b64 exec, exec, s[12:13]
	s_cbranch_execnz .LBB5_16
.LBB5_17:
	s_or_b64 exec, exec, s[8:9]
	s_and_b32 s5, s14, 3
	s_cmp_eq_u32 s5, 0
	s_mov_b32 s15, 0
	s_cbranch_scc1 .LBB5_20
; %bb.18:
	s_and_b32 s8, s16, -4
	s_add_i32 s4, s8, s4
	s_mov_b32 s15, s5
	v_mov_b32_e32 v8, v1
	s_cbranch_execnz .LBB5_21
	s_branch .LBB5_27
.LBB5_19:
	s_mov_b32 s15, 0
	s_mov_b32 s4, 0
	v_mov_b32_e32 v8, v1
	s_branch .LBB5_27
.LBB5_20:
	v_mov_b32_e32 v8, v1
	s_branch .LBB5_27
.LBB5_21:
	s_and_b32 s16, s15, 0xffffff00
	v_cmp_gt_i32_e32 vcc, s16, v8
	s_and_saveexec_b64 s[8:9], vcc
	s_cbranch_execz .LBB5_24
; %bb.22:
	s_ashr_i32 s5, s4, 31
	s_lshl_b64 s[12:13], s[4:5], 2
	v_mov_b32_e32 v1, s13
	v_add_co_u32_e32 v10, vcc, s12, v6
	v_mov_b32_e32 v9, 0
	v_addc_co_u32_e32 v11, vcc, v7, v1, vcc
	v_lshlrev_b64 v[14:15], 2, v[8:9]
	v_add_co_u32_e32 v10, vcc, v10, v14
	v_addc_co_u32_e32 v11, vcc, v11, v15, vcc
	v_add_co_u32_e32 v9, vcc, s12, v4
	v_addc_co_u32_e32 v13, vcc, v5, v1, vcc
	;; [unrolled: 2-line block ×5, first 2 shown]
	s_mov_b64 s[12:13], 0
	s_movk_i32 s5, 0x1000
.LBB5_23:                               ; =>This Inner Loop Header: Depth=1
	flat_load_dword v1, v[10:11] glc slc
	flat_load_dword v9, v[10:11] offset:256 glc slc
	flat_load_dword v16, v[10:11] offset:512 glc slc
	flat_load_dword v17, v[10:11] offset:768 glc slc
	v_add_u32_e32 v8, 0x400, v8
	v_cmp_le_i32_e32 vcc, s16, v8
	s_or_b64 s[12:13], vcc, s[12:13]
	s_waitcnt vmcnt(0) lgkmcnt(0)
	flat_store_dword v[12:13], v1 glc slc
	flat_store_dword v[12:13], v9 offset:256 glc slc
	flat_store_dword v[12:13], v16 offset:512 glc slc
	flat_store_dword v[12:13], v17 offset:768 glc slc
	flat_store_dword v[14:15], v1 glc slc
	flat_store_dword v[14:15], v9 offset:256 glc slc
	flat_store_dword v[14:15], v16 offset:512 glc slc
	;; [unrolled: 1-line block ×3, first 2 shown]
	v_add_co_u32_e32 v12, vcc, s5, v12
	v_addc_co_u32_e32 v13, vcc, 0, v13, vcc
	v_add_co_u32_e32 v14, vcc, 0x1000, v14
	v_addc_co_u32_e32 v15, vcc, 0, v15, vcc
	;; [unrolled: 2-line block ×3, first 2 shown]
	s_andn2_b64 exec, exec, s[12:13]
	s_cbranch_execnz .LBB5_23
.LBB5_24:
	s_or_b64 exec, exec, s[8:9]
	s_and_b32 s5, s15, 0xff
	v_cmp_gt_u32_e32 vcc, s5, v0
	s_and_saveexec_b64 s[8:9], vcc
	s_cbranch_execz .LBB5_26
; %bb.25:
	s_add_i32 s4, s16, s4
	s_ashr_i32 s5, s4, 31
	s_lshl_b64 s[4:5], s[4:5], 2
	v_mov_b32_e32 v8, s5
	v_add_co_u32_e32 v1, vcc, s4, v6
	v_addc_co_u32_e32 v6, vcc, v7, v8, vcc
	v_lshlrev_b32_e32 v7, 2, v0
	v_add_co_u32_e32 v0, vcc, v1, v7
	v_addc_co_u32_e32 v1, vcc, 0, v6, vcc
	flat_load_dword v6, v[0:1] glc slc
	v_add_co_u32_e32 v0, vcc, s4, v4
	v_addc_co_u32_e32 v1, vcc, v5, v8, vcc
	v_add_co_u32_e32 v2, vcc, s4, v2
	v_addc_co_u32_e32 v3, vcc, v3, v8, vcc
	;; [unrolled: 2-line block ×4, first 2 shown]
	s_waitcnt vmcnt(0) lgkmcnt(0)
	flat_store_dword v[0:1], v6 glc slc
	flat_store_dword v[2:3], v6 glc slc
.LBB5_26:
	s_or_b64 exec, exec, s[8:9]
.LBB5_27:
	s_waitcnt lgkmcnt(0)
	s_barrier
	s_and_saveexec_b64 s[4:5], s[0:1]
	s_cbranch_execz .LBB5_32
; %bb.28:
	s_lshl_b64 s[0:1], s[6:7], 3
	s_memrealtime s[6:7]
	s_mov_b64 s[8:9], exec
	v_mbcnt_lo_u32_b32 v0, s8, 0
	s_add_u32 s0, s10, s0
	v_mbcnt_hi_u32_b32 v0, s9, v0
	s_addc_u32 s1, s11, s1
	v_cmp_eq_u32_e32 vcc, 0, v0
	s_and_saveexec_b64 s[4:5], vcc
	s_cbranch_execz .LBB5_30
; %bb.29:
	s_waitcnt lgkmcnt(0)
	s_sub_u32 s2, s6, s2
	s_subb_u32 s3, s7, s3
	s_bcnt1_i32_b64 s6, s[8:9]
	s_mul_i32 s3, s3, s6
	s_mul_hi_u32 s7, s2, s6
	s_add_i32 s7, s7, s3
	s_mul_i32 s2, s2, s6
	v_mov_b32_e32 v0, s2
	v_mov_b32_e32 v1, s7
	;; [unrolled: 1-line block ×3, first 2 shown]
	buffer_wbl2
	s_waitcnt vmcnt(0)
	global_atomic_add_x2 v2, v[0:1], s[0:1]
	s_waitcnt vmcnt(0)
	buffer_invl2
	buffer_wbinvl1_vol
.LBB5_30:
	s_or_b64 exec, exec, s[4:5]
	s_mov_b64 s[2:3], exec
	v_mbcnt_lo_u32_b32 v0, s2, 0
	v_mbcnt_hi_u32_b32 v0, s3, v0
	v_cmp_eq_u32_e32 vcc, 0, v0
	s_and_b64 s[4:5], exec, vcc
	s_mov_b64 exec, s[4:5]
	s_cbranch_execz .LBB5_32
; %bb.31:
	s_bcnt1_i32_b64 s2, s[2:3]
	s_mul_hi_i32 s3, s14, s2
	s_mul_i32 s2, s14, s2
	s_lshl_b64 s[2:3], s[2:3], 2
	v_mov_b32_e32 v2, 0
	v_pk_mov_b32 v[0:1], s[2:3], s[2:3] op_sel:[0,1]
	buffer_wbl2
	s_waitcnt vmcnt(0) lgkmcnt(0)
	global_atomic_add_x2 v2, v[0:1], s[0:1] offset:448
	s_waitcnt vmcnt(0)
	buffer_invl2
	buffer_wbinvl1_vol
.LBB5_32:
	s_endpgm
	.section	.rodata,"a",@progbits
	.p2align	6, 0x0
	.amdhsa_kernel _Z16flag_sync_kernelILi2ELi0EEvP15transfer_data_tP16profiling_data_tm
		.amdhsa_group_segment_fixed_size 0
		.amdhsa_private_segment_fixed_size 0
		.amdhsa_kernarg_size 24
		.amdhsa_user_sgpr_count 6
		.amdhsa_user_sgpr_private_segment_buffer 1
		.amdhsa_user_sgpr_dispatch_ptr 0
		.amdhsa_user_sgpr_queue_ptr 0
		.amdhsa_user_sgpr_kernarg_segment_ptr 1
		.amdhsa_user_sgpr_dispatch_id 0
		.amdhsa_user_sgpr_flat_scratch_init 0
		.amdhsa_user_sgpr_kernarg_preload_length 0
		.amdhsa_user_sgpr_kernarg_preload_offset 0
		.amdhsa_user_sgpr_private_segment_size 0
		.amdhsa_uses_dynamic_stack 0
		.amdhsa_system_sgpr_private_segment_wavefront_offset 0
		.amdhsa_system_sgpr_workgroup_id_x 1
		.amdhsa_system_sgpr_workgroup_id_y 0
		.amdhsa_system_sgpr_workgroup_id_z 0
		.amdhsa_system_sgpr_workgroup_info 0
		.amdhsa_system_vgpr_workitem_id 0
		.amdhsa_next_free_vgpr 32
		.amdhsa_next_free_sgpr 18
		.amdhsa_accum_offset 32
		.amdhsa_reserve_vcc 1
		.amdhsa_reserve_flat_scratch 0
		.amdhsa_float_round_mode_32 0
		.amdhsa_float_round_mode_16_64 0
		.amdhsa_float_denorm_mode_32 3
		.amdhsa_float_denorm_mode_16_64 3
		.amdhsa_dx10_clamp 1
		.amdhsa_ieee_mode 1
		.amdhsa_fp16_overflow 0
		.amdhsa_tg_split 0
		.amdhsa_exception_fp_ieee_invalid_op 0
		.amdhsa_exception_fp_denorm_src 0
		.amdhsa_exception_fp_ieee_div_zero 0
		.amdhsa_exception_fp_ieee_overflow 0
		.amdhsa_exception_fp_ieee_underflow 0
		.amdhsa_exception_fp_ieee_inexact 0
		.amdhsa_exception_int_div_zero 0
	.end_amdhsa_kernel
	.section	.text._Z16flag_sync_kernelILi2ELi0EEvP15transfer_data_tP16profiling_data_tm,"axG",@progbits,_Z16flag_sync_kernelILi2ELi0EEvP15transfer_data_tP16profiling_data_tm,comdat
.Lfunc_end5:
	.size	_Z16flag_sync_kernelILi2ELi0EEvP15transfer_data_tP16profiling_data_tm, .Lfunc_end5-_Z16flag_sync_kernelILi2ELi0EEvP15transfer_data_tP16profiling_data_tm
                                        ; -- End function
	.section	.AMDGPU.csdata,"",@progbits
; Kernel info:
; codeLenInByte = 1452
; NumSgprs: 22
; NumVgprs: 32
; NumAgprs: 0
; TotalNumVgprs: 32
; ScratchSize: 0
; MemoryBound: 0
; FloatMode: 240
; IeeeMode: 1
; LDSByteSize: 0 bytes/workgroup (compile time only)
; SGPRBlocks: 2
; VGPRBlocks: 3
; NumSGPRsForWavesPerEU: 22
; NumVGPRsForWavesPerEU: 32
; AccumOffset: 32
; Occupancy: 8
; WaveLimiterHint : 1
; COMPUTE_PGM_RSRC2:SCRATCH_EN: 0
; COMPUTE_PGM_RSRC2:USER_SGPR: 6
; COMPUTE_PGM_RSRC2:TRAP_HANDLER: 0
; COMPUTE_PGM_RSRC2:TGID_X_EN: 1
; COMPUTE_PGM_RSRC2:TGID_Y_EN: 0
; COMPUTE_PGM_RSRC2:TGID_Z_EN: 0
; COMPUTE_PGM_RSRC2:TIDIG_COMP_CNT: 0
; COMPUTE_PGM_RSRC3_GFX90A:ACCUM_OFFSET: 7
; COMPUTE_PGM_RSRC3_GFX90A:TG_SPLIT: 0
	.section	.text._Z16flag_sync_kernelILi2ELi1EEvP15transfer_data_tP16profiling_data_tm,"axG",@progbits,_Z16flag_sync_kernelILi2ELi1EEvP15transfer_data_tP16profiling_data_tm,comdat
	.protected	_Z16flag_sync_kernelILi2ELi1EEvP15transfer_data_tP16profiling_data_tm ; -- Begin function _Z16flag_sync_kernelILi2ELi1EEvP15transfer_data_tP16profiling_data_tm
	.globl	_Z16flag_sync_kernelILi2ELi1EEvP15transfer_data_tP16profiling_data_tm
	.p2align	8
	.type	_Z16flag_sync_kernelILi2ELi1EEvP15transfer_data_tP16profiling_data_tm,@function
_Z16flag_sync_kernelILi2ELi1EEvP15transfer_data_tP16profiling_data_tm: ; @_Z16flag_sync_kernelILi2ELi1EEvP15transfer_data_tP16profiling_data_tm
; %bb.0:
	s_load_dwordx4 s[8:11], s[4:5], 0x0
	s_load_dwordx2 s[2:3], s[4:5], 0x10
	v_cmp_eq_u32_e64 s[0:1], 0, v0
	s_waitcnt lgkmcnt(0)
	s_load_dword s18, s[8:9], 0x8c0
	s_and_saveexec_b64 s[4:5], s[0:1]
	s_cbranch_execz .LBB6_8
; %bb.1:
	s_mov_b64 s[14:15], exec
	v_mbcnt_lo_u32_b32 v1, s14, 0
	v_mbcnt_hi_u32_b32 v1, s15, v1
	v_cmp_eq_u32_e32 vcc, 0, v1
	s_and_saveexec_b64 s[12:13], vcc
	s_cbranch_execz .LBB6_3
; %bb.2:
	s_load_dword s16, s[8:9], 0x8c4
	s_load_dwordx2 s[20:21], s[8:9], 0x8d0
	v_mov_b32_e32 v3, 0
	s_waitcnt lgkmcnt(0)
	s_ashr_i32 s17, s16, 31
	s_lshl_b64 s[16:17], s[16:17], 3
	s_add_u32 s16, s20, s16
	s_addc_u32 s17, s21, s17
	s_bcnt1_i32_b64 s7, s[14:15]
	v_mov_b32_e32 v2, s7
	buffer_wbl2
	global_atomic_add_x2 v3, v[2:3], s[16:17]
	s_waitcnt vmcnt(0)
	buffer_invl2
	buffer_wbinvl1_vol
.LBB6_3:
	s_or_b64 exec, exec, s[12:13]
	v_mov_b32_e32 v1, 0
	global_load_dword v2, v1, s[8:9] offset:2248
	s_waitcnt vmcnt(0)
	v_cmp_gt_i32_e32 vcc, 1, v2
	s_cbranch_vccnz .LBB6_8
; %bb.4:
	s_mov_b32 s13, 0
	s_mov_b32 s12, s13
.LBB6_5:                                ; =>This Loop Header: Depth=1
                                        ;     Child Loop BB6_6 Depth 2
	s_lshl_b64 s[16:17], s[12:13], 3
	s_mov_b64 s[14:15], 0
	v_mov_b32_e32 v2, s17
.LBB6_6:                                ;   Parent Loop BB6_5 Depth=1
                                        ; =>  This Inner Loop Header: Depth=2
	global_load_dwordx2 v[4:5], v1, s[8:9] offset:2256
	s_waitcnt vmcnt(0)
	v_add_co_u32_e32 v4, vcc, s16, v4
	v_addc_co_u32_e32 v5, vcc, v5, v2, vcc
	s_waitcnt lgkmcnt(0)
	flat_load_dwordx2 v[4:5], v[4:5] glc
	s_waitcnt vmcnt(0) lgkmcnt(0)
	buffer_invl2
	buffer_wbinvl1_vol
	v_cmp_le_u64_e32 vcc, s[2:3], v[4:5]
	s_or_b64 s[14:15], vcc, s[14:15]
	s_andn2_b64 exec, exec, s[14:15]
	s_cbranch_execnz .LBB6_6
; %bb.7:                                ;   in Loop: Header=BB6_5 Depth=1
	s_or_b64 exec, exec, s[14:15]
	global_load_dword v2, v1, s[8:9] offset:2248
	s_add_i32 s12, s12, 1
	s_waitcnt vmcnt(0)
	v_cmp_lt_i32_e32 vcc, s12, v2
	s_cbranch_vccnz .LBB6_5
.LBB6_8:
	s_or_b64 exec, exec, s[4:5]
	s_waitcnt lgkmcnt(0)
	s_barrier
	s_waitcnt lgkmcnt(0)
                                        ; implicit-def: $sgpr2_sgpr3
	s_and_saveexec_b64 s[4:5], s[0:1]
	s_cbranch_execz .LBB6_10
; %bb.9:
	s_memrealtime s[2:3]
.LBB6_10:
	s_or_b64 exec, exec, s[4:5]
	s_ashr_i32 s7, s6, 31
	s_cmp_lt_i32 s18, 1
	s_cbranch_scc1 .LBB6_32
; %bb.11:
	s_lshl_b64 s[4:5], s[6:7], 3
	s_add_u32 s4, s8, s4
	s_addc_u32 s5, s9, s5
	v_mov_b32_e32 v1, 0
	global_load_dwordx2 v[2:3], v1, s[4:5] offset:896
	global_load_dwordx2 v[6:7], v1, s[4:5] offset:448
	global_load_dwordx2 v[4:5], v1, s[4:5]
	v_lshrrev_b32_e32 v8, 6, v0
	v_and_b32_e32 v9, 63, v0
	s_mov_b32 s4, 0
	s_waitcnt vmcnt(0)
	v_or_b32_e32 v1, v4, v6
	v_or_b32_e32 v1, v1, v2
	v_and_b32_e32 v1, 3, v1
	v_cmp_eq_u32_e32 vcc, 0, v1
	v_lshl_or_b32 v1, v8, 8, v9
	s_cbranch_vccnz .LBB6_14
; %bb.12:
	v_lshl_or_b32 v8, v8, 8, v9
	s_mov_b64 s[8:9], -1
	s_mov_b32 s14, s18
	s_cbranch_execz .LBB6_15
; %bb.13:
	s_and_b64 vcc, exec, s[8:9]
	s_cbranch_vccnz .LBB6_26
	s_branch .LBB6_32
.LBB6_14:
	s_mov_b64 s[8:9], 0
                                        ; implicit-def: $sgpr4
                                        ; implicit-def: $vgpr8
	s_mov_b32 s14, s18
.LBB6_15:
	s_lshr_b32 s4, s18, 2
	s_and_b32 s12, s4, 0x1fffff00
	v_cmp_gt_u32_e32 vcc, s12, v1
	s_and_saveexec_b64 s[4:5], vcc
	s_cbranch_execz .LBB6_18
; %bb.16:
	v_lshlrev_b32_e32 v12, 4, v1
	v_add_co_u32_e32 v8, vcc, v6, v12
	v_addc_co_u32_e32 v9, vcc, 0, v7, vcc
	v_add_co_u32_e32 v10, vcc, v4, v12
	v_addc_co_u32_e32 v11, vcc, 0, v5, vcc
	;; [unrolled: 2-line block ×3, first 2 shown]
	s_mov_b64 s[8:9], 0
	s_movk_i32 s13, 0x4000
	v_mov_b32_e32 v14, v1
.LBB6_17:                               ; =>This Inner Loop Header: Depth=1
	flat_load_dwordx4 v[16:19], v[8:9] glc slc
	flat_load_dwordx4 v[20:23], v[8:9] offset:1024 glc slc
	flat_load_dwordx4 v[24:27], v[8:9] offset:2048 glc slc
	;; [unrolled: 1-line block ×3, first 2 shown]
	v_add_u32_e32 v14, 0x400, v14
	v_cmp_le_u32_e32 vcc, s12, v14
	s_or_b64 s[8:9], vcc, s[8:9]
	s_waitcnt vmcnt(0) lgkmcnt(0)
	flat_store_dwordx4 v[10:11], v[16:19] glc slc
	flat_store_dwordx4 v[10:11], v[20:23] offset:1024 glc slc
	flat_store_dwordx4 v[10:11], v[24:27] offset:2048 glc slc
	;; [unrolled: 1-line block ×3, first 2 shown]
	flat_store_dwordx4 v[12:13], v[16:19] glc slc
	flat_store_dwordx4 v[12:13], v[20:23] offset:1024 glc slc
	flat_store_dwordx4 v[12:13], v[24:27] offset:2048 glc slc
	;; [unrolled: 1-line block ×3, first 2 shown]
	v_add_co_u32_e32 v10, vcc, s13, v10
	v_addc_co_u32_e32 v11, vcc, 0, v11, vcc
	v_add_co_u32_e32 v12, vcc, 0x4000, v12
	v_addc_co_u32_e32 v13, vcc, 0, v13, vcc
	;; [unrolled: 2-line block ×3, first 2 shown]
	s_andn2_b64 exec, exec, s[8:9]
	s_cbranch_execnz .LBB6_17
.LBB6_18:
	s_or_b64 exec, exec, s[4:5]
	s_lshl_b32 s4, s12, 2
	s_cmp_eq_u32 s18, s4
	s_cbranch_scc1 .LBB6_24
; %bb.19:
	s_sub_i32 s15, s18, s4
	s_ashr_i32 s14, s15, 2
	v_cmp_gt_i32_e32 vcc, s14, v0
	s_and_saveexec_b64 s[8:9], vcc
	s_cbranch_execz .LBB6_22
; %bb.20:
	s_mov_b32 s5, 0
	s_lshl_b64 s[12:13], s[4:5], 2
	v_mov_b32_e32 v12, s13
	v_add_co_u32_e32 v8, vcc, s12, v6
	v_addc_co_u32_e32 v9, vcc, v7, v12, vcc
	v_lshlrev_b32_e32 v13, 4, v0
	v_add_co_u32_e32 v8, vcc, v8, v13
	v_addc_co_u32_e32 v9, vcc, 0, v9, vcc
	v_add_co_u32_e32 v10, vcc, s12, v4
	v_addc_co_u32_e32 v11, vcc, v5, v12, vcc
	;; [unrolled: 2-line block ×5, first 2 shown]
	s_mov_b64 s[12:13], 0
	v_mov_b32_e32 v14, v0
.LBB6_21:                               ; =>This Inner Loop Header: Depth=1
	flat_load_dwordx4 v[16:19], v[8:9] glc slc
	v_add_u32_e32 v14, 0x100, v14
	v_cmp_le_i32_e32 vcc, s14, v14
	s_or_b64 s[12:13], vcc, s[12:13]
	s_waitcnt vmcnt(0) lgkmcnt(0)
	flat_store_dwordx4 v[10:11], v[16:19] glc slc
	flat_store_dwordx4 v[12:13], v[16:19] glc slc
	v_add_co_u32_e32 v10, vcc, 0x1000, v10
	v_addc_co_u32_e32 v11, vcc, 0, v11, vcc
	v_add_co_u32_e32 v12, vcc, 0x1000, v12
	v_addc_co_u32_e32 v13, vcc, 0, v13, vcc
	;; [unrolled: 2-line block ×3, first 2 shown]
	s_andn2_b64 exec, exec, s[12:13]
	s_cbranch_execnz .LBB6_21
.LBB6_22:
	s_or_b64 exec, exec, s[8:9]
	s_and_b32 s5, s18, 3
	s_cmp_eq_u32 s5, 0
	s_mov_b32 s14, 0
	s_cbranch_scc1 .LBB6_25
; %bb.23:
	s_and_b32 s8, s15, -4
	s_add_i32 s4, s8, s4
	s_mov_b32 s14, s5
	v_mov_b32_e32 v8, v1
	s_cbranch_execnz .LBB6_26
	s_branch .LBB6_32
.LBB6_24:
	s_mov_b32 s14, 0
	s_mov_b32 s4, 0
	v_mov_b32_e32 v8, v1
	s_branch .LBB6_32
.LBB6_25:
	v_mov_b32_e32 v8, v1
	s_branch .LBB6_32
.LBB6_26:
	s_and_b32 s15, s14, 0xffffff00
	v_cmp_gt_i32_e32 vcc, s15, v8
	s_and_saveexec_b64 s[8:9], vcc
	s_cbranch_execz .LBB6_29
; %bb.27:
	s_ashr_i32 s5, s4, 31
	s_lshl_b64 s[12:13], s[4:5], 2
	v_mov_b32_e32 v1, s13
	v_add_co_u32_e32 v10, vcc, s12, v6
	v_mov_b32_e32 v9, 0
	v_addc_co_u32_e32 v11, vcc, v7, v1, vcc
	v_lshlrev_b64 v[14:15], 2, v[8:9]
	v_add_co_u32_e32 v10, vcc, v10, v14
	v_addc_co_u32_e32 v11, vcc, v11, v15, vcc
	v_add_co_u32_e32 v9, vcc, s12, v4
	v_addc_co_u32_e32 v13, vcc, v5, v1, vcc
	;; [unrolled: 2-line block ×5, first 2 shown]
	s_mov_b64 s[12:13], 0
	s_movk_i32 s5, 0x1000
.LBB6_28:                               ; =>This Inner Loop Header: Depth=1
	flat_load_dword v1, v[10:11] glc slc
	flat_load_dword v9, v[10:11] offset:256 glc slc
	flat_load_dword v16, v[10:11] offset:512 glc slc
	;; [unrolled: 1-line block ×3, first 2 shown]
	v_add_u32_e32 v8, 0x400, v8
	v_cmp_le_i32_e32 vcc, s15, v8
	s_or_b64 s[12:13], vcc, s[12:13]
	s_waitcnt vmcnt(0) lgkmcnt(0)
	flat_store_dword v[12:13], v1 glc slc
	flat_store_dword v[12:13], v9 offset:256 glc slc
	flat_store_dword v[12:13], v16 offset:512 glc slc
	;; [unrolled: 1-line block ×3, first 2 shown]
	flat_store_dword v[14:15], v1 glc slc
	flat_store_dword v[14:15], v9 offset:256 glc slc
	flat_store_dword v[14:15], v16 offset:512 glc slc
	;; [unrolled: 1-line block ×3, first 2 shown]
	v_add_co_u32_e32 v12, vcc, s5, v12
	v_addc_co_u32_e32 v13, vcc, 0, v13, vcc
	v_add_co_u32_e32 v14, vcc, 0x1000, v14
	v_addc_co_u32_e32 v15, vcc, 0, v15, vcc
	;; [unrolled: 2-line block ×3, first 2 shown]
	s_andn2_b64 exec, exec, s[12:13]
	s_cbranch_execnz .LBB6_28
.LBB6_29:
	s_or_b64 exec, exec, s[8:9]
	s_and_b32 s5, s14, 0xff
	v_cmp_gt_u32_e32 vcc, s5, v0
	s_and_saveexec_b64 s[8:9], vcc
	s_cbranch_execz .LBB6_31
; %bb.30:
	s_add_i32 s4, s15, s4
	s_ashr_i32 s5, s4, 31
	s_lshl_b64 s[4:5], s[4:5], 2
	v_mov_b32_e32 v8, s5
	v_add_co_u32_e32 v1, vcc, s4, v6
	v_addc_co_u32_e32 v6, vcc, v7, v8, vcc
	v_lshlrev_b32_e32 v7, 2, v0
	v_add_co_u32_e32 v0, vcc, v1, v7
	v_addc_co_u32_e32 v1, vcc, 0, v6, vcc
	flat_load_dword v6, v[0:1] glc slc
	v_add_co_u32_e32 v0, vcc, s4, v4
	v_addc_co_u32_e32 v1, vcc, v5, v8, vcc
	v_add_co_u32_e32 v2, vcc, s4, v2
	v_addc_co_u32_e32 v3, vcc, v3, v8, vcc
	;; [unrolled: 2-line block ×4, first 2 shown]
	s_waitcnt vmcnt(0) lgkmcnt(0)
	flat_store_dword v[0:1], v6 glc slc
	flat_store_dword v[2:3], v6 glc slc
.LBB6_31:
	s_or_b64 exec, exec, s[8:9]
.LBB6_32:
	s_waitcnt lgkmcnt(0)
	s_barrier
	s_and_saveexec_b64 s[4:5], s[0:1]
	s_cbranch_execz .LBB6_37
; %bb.33:
	s_lshl_b64 s[0:1], s[6:7], 3
	s_memrealtime s[6:7]
	s_mov_b64 s[8:9], exec
	v_mbcnt_lo_u32_b32 v0, s8, 0
	s_add_u32 s0, s10, s0
	v_mbcnt_hi_u32_b32 v0, s9, v0
	s_addc_u32 s1, s11, s1
	v_cmp_eq_u32_e32 vcc, 0, v0
	s_and_saveexec_b64 s[4:5], vcc
	s_cbranch_execz .LBB6_35
; %bb.34:
	s_waitcnt lgkmcnt(0)
	s_sub_u32 s2, s6, s2
	s_subb_u32 s3, s7, s3
	s_bcnt1_i32_b64 s6, s[8:9]
	s_mul_i32 s3, s3, s6
	s_mul_hi_u32 s7, s2, s6
	s_add_i32 s7, s7, s3
	s_mul_i32 s2, s2, s6
	v_mov_b32_e32 v0, s2
	v_mov_b32_e32 v1, s7
	v_mov_b32_e32 v2, 0
	buffer_wbl2
	s_waitcnt vmcnt(0)
	global_atomic_add_x2 v2, v[0:1], s[0:1]
	s_waitcnt vmcnt(0)
	buffer_invl2
	buffer_wbinvl1_vol
.LBB6_35:
	s_or_b64 exec, exec, s[4:5]
	s_mov_b64 s[2:3], exec
	v_mbcnt_lo_u32_b32 v0, s2, 0
	v_mbcnt_hi_u32_b32 v0, s3, v0
	v_cmp_eq_u32_e32 vcc, 0, v0
	s_and_b64 s[4:5], exec, vcc
	s_mov_b64 exec, s[4:5]
	s_cbranch_execz .LBB6_37
; %bb.36:
	s_bcnt1_i32_b64 s2, s[2:3]
	s_mul_hi_i32 s3, s18, s2
	s_mul_i32 s2, s18, s2
	s_lshl_b64 s[2:3], s[2:3], 2
	v_mov_b32_e32 v2, 0
	v_pk_mov_b32 v[0:1], s[2:3], s[2:3] op_sel:[0,1]
	buffer_wbl2
	s_waitcnt vmcnt(0) lgkmcnt(0)
	global_atomic_add_x2 v2, v[0:1], s[0:1] offset:448
	s_waitcnt vmcnt(0)
	buffer_invl2
	buffer_wbinvl1_vol
.LBB6_37:
	s_endpgm
	.section	.rodata,"a",@progbits
	.p2align	6, 0x0
	.amdhsa_kernel _Z16flag_sync_kernelILi2ELi1EEvP15transfer_data_tP16profiling_data_tm
		.amdhsa_group_segment_fixed_size 0
		.amdhsa_private_segment_fixed_size 0
		.amdhsa_kernarg_size 24
		.amdhsa_user_sgpr_count 6
		.amdhsa_user_sgpr_private_segment_buffer 1
		.amdhsa_user_sgpr_dispatch_ptr 0
		.amdhsa_user_sgpr_queue_ptr 0
		.amdhsa_user_sgpr_kernarg_segment_ptr 1
		.amdhsa_user_sgpr_dispatch_id 0
		.amdhsa_user_sgpr_flat_scratch_init 0
		.amdhsa_user_sgpr_kernarg_preload_length 0
		.amdhsa_user_sgpr_kernarg_preload_offset 0
		.amdhsa_user_sgpr_private_segment_size 0
		.amdhsa_uses_dynamic_stack 0
		.amdhsa_system_sgpr_private_segment_wavefront_offset 0
		.amdhsa_system_sgpr_workgroup_id_x 1
		.amdhsa_system_sgpr_workgroup_id_y 0
		.amdhsa_system_sgpr_workgroup_id_z 0
		.amdhsa_system_sgpr_workgroup_info 0
		.amdhsa_system_vgpr_workitem_id 0
		.amdhsa_next_free_vgpr 32
		.amdhsa_next_free_sgpr 22
		.amdhsa_accum_offset 32
		.amdhsa_reserve_vcc 1
		.amdhsa_reserve_flat_scratch 0
		.amdhsa_float_round_mode_32 0
		.amdhsa_float_round_mode_16_64 0
		.amdhsa_float_denorm_mode_32 3
		.amdhsa_float_denorm_mode_16_64 3
		.amdhsa_dx10_clamp 1
		.amdhsa_ieee_mode 1
		.amdhsa_fp16_overflow 0
		.amdhsa_tg_split 0
		.amdhsa_exception_fp_ieee_invalid_op 0
		.amdhsa_exception_fp_denorm_src 0
		.amdhsa_exception_fp_ieee_div_zero 0
		.amdhsa_exception_fp_ieee_overflow 0
		.amdhsa_exception_fp_ieee_underflow 0
		.amdhsa_exception_fp_ieee_inexact 0
		.amdhsa_exception_int_div_zero 0
	.end_amdhsa_kernel
	.section	.text._Z16flag_sync_kernelILi2ELi1EEvP15transfer_data_tP16profiling_data_tm,"axG",@progbits,_Z16flag_sync_kernelILi2ELi1EEvP15transfer_data_tP16profiling_data_tm,comdat
.Lfunc_end6:
	.size	_Z16flag_sync_kernelILi2ELi1EEvP15transfer_data_tP16profiling_data_tm, .Lfunc_end6-_Z16flag_sync_kernelILi2ELi1EEvP15transfer_data_tP16profiling_data_tm
                                        ; -- End function
	.section	.AMDGPU.csdata,"",@progbits
; Kernel info:
; codeLenInByte = 1604
; NumSgprs: 26
; NumVgprs: 32
; NumAgprs: 0
; TotalNumVgprs: 32
; ScratchSize: 0
; MemoryBound: 0
; FloatMode: 240
; IeeeMode: 1
; LDSByteSize: 0 bytes/workgroup (compile time only)
; SGPRBlocks: 3
; VGPRBlocks: 3
; NumSGPRsForWavesPerEU: 26
; NumVGPRsForWavesPerEU: 32
; AccumOffset: 32
; Occupancy: 8
; WaveLimiterHint : 1
; COMPUTE_PGM_RSRC2:SCRATCH_EN: 0
; COMPUTE_PGM_RSRC2:USER_SGPR: 6
; COMPUTE_PGM_RSRC2:TRAP_HANDLER: 0
; COMPUTE_PGM_RSRC2:TGID_X_EN: 1
; COMPUTE_PGM_RSRC2:TGID_Y_EN: 0
; COMPUTE_PGM_RSRC2:TGID_Z_EN: 0
; COMPUTE_PGM_RSRC2:TIDIG_COMP_CNT: 0
; COMPUTE_PGM_RSRC3_GFX90A:ACCUM_OFFSET: 7
; COMPUTE_PGM_RSRC3_GFX90A:TG_SPLIT: 0
	.section	.text._Z16flag_sync_kernelILi3ELi0EEvP15transfer_data_tP16profiling_data_tm,"axG",@progbits,_Z16flag_sync_kernelILi3ELi0EEvP15transfer_data_tP16profiling_data_tm,comdat
	.protected	_Z16flag_sync_kernelILi3ELi0EEvP15transfer_data_tP16profiling_data_tm ; -- Begin function _Z16flag_sync_kernelILi3ELi0EEvP15transfer_data_tP16profiling_data_tm
	.globl	_Z16flag_sync_kernelILi3ELi0EEvP15transfer_data_tP16profiling_data_tm
	.p2align	8
	.type	_Z16flag_sync_kernelILi3ELi0EEvP15transfer_data_tP16profiling_data_tm,@function
_Z16flag_sync_kernelILi3ELi0EEvP15transfer_data_tP16profiling_data_tm: ; @_Z16flag_sync_kernelILi3ELi0EEvP15transfer_data_tP16profiling_data_tm
; %bb.0:
	s_load_dwordx4 s[8:11], s[4:5], 0x0
	v_cmp_eq_u32_e64 s[0:1], 0, v0
	s_waitcnt lgkmcnt(0)
	s_load_dword s14, s[8:9], 0x8c0
	s_and_saveexec_b64 s[2:3], s[0:1]
	s_cbranch_execz .LBB7_3
; %bb.1:
	s_mov_b64 s[4:5], exec
	v_mbcnt_lo_u32_b32 v1, s4, 0
	v_mbcnt_hi_u32_b32 v1, s5, v1
	v_cmp_eq_u32_e32 vcc, 0, v1
	s_and_b64 s[12:13], exec, vcc
	s_mov_b64 exec, s[12:13]
	s_cbranch_execz .LBB7_3
; %bb.2:
	s_load_dword s12, s[8:9], 0x8c4
	s_load_dwordx2 s[16:17], s[8:9], 0x8d0
	v_mov_b32_e32 v3, 0
	s_waitcnt lgkmcnt(0)
	s_ashr_i32 s13, s12, 31
	s_lshl_b64 s[12:13], s[12:13], 3
	s_add_u32 s12, s16, s12
	s_addc_u32 s13, s17, s13
	s_bcnt1_i32_b64 s4, s[4:5]
	v_mov_b32_e32 v2, s4
	buffer_wbl2
	global_atomic_add_x2 v3, v[2:3], s[12:13]
	s_waitcnt vmcnt(0)
	buffer_invl2
	buffer_wbinvl1_vol
.LBB7_3:
	s_or_b64 exec, exec, s[2:3]
	s_waitcnt lgkmcnt(0)
	s_barrier
	s_waitcnt lgkmcnt(0)
                                        ; implicit-def: $sgpr2_sgpr3
	s_and_saveexec_b64 s[4:5], s[0:1]
	s_cbranch_execz .LBB7_5
; %bb.4:
	s_memrealtime s[2:3]
.LBB7_5:
	s_or_b64 exec, exec, s[4:5]
	s_ashr_i32 s7, s6, 31
	s_cmp_lt_i32 s14, 1
	s_cbranch_scc1 .LBB7_27
; %bb.6:
	s_lshl_b64 s[4:5], s[6:7], 3
	s_add_u32 s4, s8, s4
	s_addc_u32 s5, s9, s5
	v_mov_b32_e32 v1, 0
	global_load_dwordx2 v[6:7], v1, s[4:5] offset:448
	global_load_dwordx2 v[4:5], v1, s[4:5] offset:896
	;; [unrolled: 1-line block ×3, first 2 shown]
	v_lshrrev_b32_e32 v8, 6, v0
	v_and_b32_e32 v9, 63, v0
	s_mov_b32 s4, 0
	s_waitcnt vmcnt(1)
	v_or_b32_e32 v1, v4, v6
	s_waitcnt vmcnt(0)
	v_or_b32_e32 v1, v1, v2
	v_and_b32_e32 v1, 3, v1
	v_cmp_eq_u32_e32 vcc, 0, v1
	v_lshl_or_b32 v1, v8, 8, v9
	s_cbranch_vccnz .LBB7_9
; %bb.7:
	v_lshl_or_b32 v8, v8, 8, v9
	s_mov_b64 s[8:9], -1
	s_mov_b32 s15, s14
	s_cbranch_execz .LBB7_10
; %bb.8:
	s_and_b64 vcc, exec, s[8:9]
	s_cbranch_vccnz .LBB7_21
	s_branch .LBB7_27
.LBB7_9:
	s_mov_b64 s[8:9], 0
                                        ; implicit-def: $sgpr15
                                        ; implicit-def: $sgpr4
                                        ; implicit-def: $vgpr8
.LBB7_10:
	s_lshr_b32 s4, s14, 2
	s_and_b32 s12, s4, 0x1fffff00
	v_cmp_gt_u32_e32 vcc, s12, v1
	s_and_saveexec_b64 s[4:5], vcc
	s_cbranch_execz .LBB7_13
; %bb.11:
	v_lshlrev_b32_e32 v12, 4, v1
	v_add_co_u32_e32 v8, vcc, v6, v12
	v_addc_co_u32_e32 v9, vcc, 0, v7, vcc
	v_add_co_u32_e32 v10, vcc, v4, v12
	v_addc_co_u32_e32 v11, vcc, 0, v5, vcc
	;; [unrolled: 2-line block ×3, first 2 shown]
	s_mov_b64 s[8:9], 0
	s_movk_i32 s13, 0x4000
	v_mov_b32_e32 v14, v1
.LBB7_12:                               ; =>This Inner Loop Header: Depth=1
	flat_load_dwordx4 v[16:19], v[8:9] glc slc
	flat_load_dwordx4 v[20:23], v[8:9] offset:1024 glc slc
	flat_load_dwordx4 v[24:27], v[8:9] offset:2048 glc slc
	;; [unrolled: 1-line block ×3, first 2 shown]
	v_add_u32_e32 v14, 0x400, v14
	v_cmp_le_u32_e32 vcc, s12, v14
	s_or_b64 s[8:9], vcc, s[8:9]
	s_waitcnt vmcnt(0) lgkmcnt(0)
	flat_store_dwordx4 v[10:11], v[16:19] glc slc
	flat_store_dwordx4 v[10:11], v[20:23] offset:1024 glc slc
	flat_store_dwordx4 v[10:11], v[24:27] offset:2048 glc slc
	;; [unrolled: 1-line block ×3, first 2 shown]
	flat_store_dwordx4 v[12:13], v[16:19] glc slc
	flat_store_dwordx4 v[12:13], v[20:23] offset:1024 glc slc
	flat_store_dwordx4 v[12:13], v[24:27] offset:2048 glc slc
	;; [unrolled: 1-line block ×3, first 2 shown]
	v_add_co_u32_e32 v10, vcc, s13, v10
	v_addc_co_u32_e32 v11, vcc, 0, v11, vcc
	v_add_co_u32_e32 v12, vcc, 0x4000, v12
	v_addc_co_u32_e32 v13, vcc, 0, v13, vcc
	v_add_co_u32_e32 v8, vcc, 0x4000, v8
	v_addc_co_u32_e32 v9, vcc, 0, v9, vcc
	s_andn2_b64 exec, exec, s[8:9]
	s_cbranch_execnz .LBB7_12
.LBB7_13:
	s_or_b64 exec, exec, s[4:5]
	s_lshl_b32 s4, s12, 2
	s_cmp_eq_u32 s14, s4
	s_cbranch_scc1 .LBB7_19
; %bb.14:
	s_sub_i32 s16, s14, s4
	s_ashr_i32 s15, s16, 2
	v_cmp_gt_i32_e32 vcc, s15, v0
	s_and_saveexec_b64 s[8:9], vcc
	s_cbranch_execz .LBB7_17
; %bb.15:
	s_mov_b32 s5, 0
	s_lshl_b64 s[12:13], s[4:5], 2
	v_mov_b32_e32 v12, s13
	v_add_co_u32_e32 v8, vcc, s12, v6
	v_addc_co_u32_e32 v9, vcc, v7, v12, vcc
	v_lshlrev_b32_e32 v13, 4, v0
	v_add_co_u32_e32 v8, vcc, v8, v13
	v_addc_co_u32_e32 v9, vcc, 0, v9, vcc
	v_add_co_u32_e32 v10, vcc, s12, v4
	v_addc_co_u32_e32 v11, vcc, v5, v12, vcc
	;; [unrolled: 2-line block ×5, first 2 shown]
	s_mov_b64 s[12:13], 0
	v_mov_b32_e32 v14, v0
.LBB7_16:                               ; =>This Inner Loop Header: Depth=1
	flat_load_dwordx4 v[16:19], v[8:9] glc slc
	v_add_u32_e32 v14, 0x100, v14
	v_cmp_le_i32_e32 vcc, s15, v14
	s_or_b64 s[12:13], vcc, s[12:13]
	s_waitcnt vmcnt(0) lgkmcnt(0)
	flat_store_dwordx4 v[10:11], v[16:19] glc slc
	flat_store_dwordx4 v[12:13], v[16:19] glc slc
	v_add_co_u32_e32 v10, vcc, 0x1000, v10
	v_addc_co_u32_e32 v11, vcc, 0, v11, vcc
	v_add_co_u32_e32 v12, vcc, 0x1000, v12
	v_addc_co_u32_e32 v13, vcc, 0, v13, vcc
	;; [unrolled: 2-line block ×3, first 2 shown]
	s_andn2_b64 exec, exec, s[12:13]
	s_cbranch_execnz .LBB7_16
.LBB7_17:
	s_or_b64 exec, exec, s[8:9]
	s_and_b32 s5, s14, 3
	s_cmp_eq_u32 s5, 0
	s_mov_b32 s15, 0
	s_cbranch_scc1 .LBB7_20
; %bb.18:
	s_and_b32 s8, s16, -4
	s_add_i32 s4, s8, s4
	s_mov_b32 s15, s5
	v_mov_b32_e32 v8, v1
	s_cbranch_execnz .LBB7_21
	s_branch .LBB7_27
.LBB7_19:
	s_mov_b32 s15, 0
	s_mov_b32 s4, 0
	v_mov_b32_e32 v8, v1
	s_branch .LBB7_27
.LBB7_20:
	v_mov_b32_e32 v8, v1
	s_branch .LBB7_27
.LBB7_21:
	s_and_b32 s16, s15, 0xffffff00
	v_cmp_gt_i32_e32 vcc, s16, v8
	s_and_saveexec_b64 s[8:9], vcc
	s_cbranch_execz .LBB7_24
; %bb.22:
	s_ashr_i32 s5, s4, 31
	s_lshl_b64 s[12:13], s[4:5], 2
	v_mov_b32_e32 v1, s13
	v_add_co_u32_e32 v10, vcc, s12, v6
	v_mov_b32_e32 v9, 0
	v_addc_co_u32_e32 v11, vcc, v7, v1, vcc
	v_lshlrev_b64 v[14:15], 2, v[8:9]
	v_add_co_u32_e32 v10, vcc, v10, v14
	v_addc_co_u32_e32 v11, vcc, v11, v15, vcc
	v_add_co_u32_e32 v9, vcc, s12, v4
	v_addc_co_u32_e32 v13, vcc, v5, v1, vcc
	;; [unrolled: 2-line block ×5, first 2 shown]
	s_mov_b64 s[12:13], 0
	s_movk_i32 s5, 0x1000
.LBB7_23:                               ; =>This Inner Loop Header: Depth=1
	flat_load_dword v1, v[10:11] glc slc
	flat_load_dword v9, v[10:11] offset:256 glc slc
	flat_load_dword v16, v[10:11] offset:512 glc slc
	;; [unrolled: 1-line block ×3, first 2 shown]
	v_add_u32_e32 v8, 0x400, v8
	v_cmp_le_i32_e32 vcc, s16, v8
	s_or_b64 s[12:13], vcc, s[12:13]
	s_waitcnt vmcnt(0) lgkmcnt(0)
	flat_store_dword v[12:13], v1 glc slc
	flat_store_dword v[12:13], v9 offset:256 glc slc
	flat_store_dword v[12:13], v16 offset:512 glc slc
	flat_store_dword v[12:13], v17 offset:768 glc slc
	flat_store_dword v[14:15], v1 glc slc
	flat_store_dword v[14:15], v9 offset:256 glc slc
	flat_store_dword v[14:15], v16 offset:512 glc slc
	;; [unrolled: 1-line block ×3, first 2 shown]
	v_add_co_u32_e32 v12, vcc, s5, v12
	v_addc_co_u32_e32 v13, vcc, 0, v13, vcc
	v_add_co_u32_e32 v14, vcc, 0x1000, v14
	v_addc_co_u32_e32 v15, vcc, 0, v15, vcc
	;; [unrolled: 2-line block ×3, first 2 shown]
	s_andn2_b64 exec, exec, s[12:13]
	s_cbranch_execnz .LBB7_23
.LBB7_24:
	s_or_b64 exec, exec, s[8:9]
	s_and_b32 s5, s15, 0xff
	v_cmp_gt_u32_e32 vcc, s5, v0
	s_and_saveexec_b64 s[8:9], vcc
	s_cbranch_execz .LBB7_26
; %bb.25:
	s_add_i32 s4, s16, s4
	s_ashr_i32 s5, s4, 31
	s_lshl_b64 s[4:5], s[4:5], 2
	v_mov_b32_e32 v8, s5
	v_add_co_u32_e32 v1, vcc, s4, v6
	v_addc_co_u32_e32 v6, vcc, v7, v8, vcc
	v_lshlrev_b32_e32 v7, 2, v0
	v_add_co_u32_e32 v0, vcc, v1, v7
	v_addc_co_u32_e32 v1, vcc, 0, v6, vcc
	flat_load_dword v6, v[0:1] glc slc
	v_add_co_u32_e32 v0, vcc, s4, v4
	v_addc_co_u32_e32 v1, vcc, v5, v8, vcc
	v_add_co_u32_e32 v2, vcc, s4, v2
	v_addc_co_u32_e32 v3, vcc, v3, v8, vcc
	;; [unrolled: 2-line block ×4, first 2 shown]
	s_waitcnt vmcnt(0) lgkmcnt(0)
	flat_store_dword v[0:1], v6 glc slc
	flat_store_dword v[2:3], v6 glc slc
.LBB7_26:
	s_or_b64 exec, exec, s[8:9]
.LBB7_27:
	s_waitcnt lgkmcnt(0)
	s_barrier
	s_and_saveexec_b64 s[4:5], s[0:1]
	s_cbranch_execz .LBB7_32
; %bb.28:
	s_lshl_b64 s[0:1], s[6:7], 3
	s_memrealtime s[6:7]
	s_mov_b64 s[8:9], exec
	v_mbcnt_lo_u32_b32 v0, s8, 0
	s_add_u32 s0, s10, s0
	v_mbcnt_hi_u32_b32 v0, s9, v0
	s_addc_u32 s1, s11, s1
	v_cmp_eq_u32_e32 vcc, 0, v0
	s_and_saveexec_b64 s[4:5], vcc
	s_cbranch_execz .LBB7_30
; %bb.29:
	s_waitcnt lgkmcnt(0)
	s_sub_u32 s2, s6, s2
	s_subb_u32 s3, s7, s3
	s_bcnt1_i32_b64 s6, s[8:9]
	s_mul_i32 s3, s3, s6
	s_mul_hi_u32 s7, s2, s6
	s_add_i32 s7, s7, s3
	s_mul_i32 s2, s2, s6
	v_mov_b32_e32 v0, s2
	v_mov_b32_e32 v1, s7
	;; [unrolled: 1-line block ×3, first 2 shown]
	buffer_wbl2
	s_waitcnt vmcnt(0)
	global_atomic_add_x2 v2, v[0:1], s[0:1]
	s_waitcnt vmcnt(0)
	buffer_invl2
	buffer_wbinvl1_vol
.LBB7_30:
	s_or_b64 exec, exec, s[4:5]
	s_mov_b64 s[2:3], exec
	v_mbcnt_lo_u32_b32 v0, s2, 0
	v_mbcnt_hi_u32_b32 v0, s3, v0
	v_cmp_eq_u32_e32 vcc, 0, v0
	s_and_b64 s[4:5], exec, vcc
	s_mov_b64 exec, s[4:5]
	s_cbranch_execz .LBB7_32
; %bb.31:
	s_bcnt1_i32_b64 s2, s[2:3]
	s_mul_hi_i32 s3, s14, s2
	s_mul_i32 s2, s14, s2
	s_lshl_b64 s[2:3], s[2:3], 2
	v_mov_b32_e32 v2, 0
	v_pk_mov_b32 v[0:1], s[2:3], s[2:3] op_sel:[0,1]
	buffer_wbl2
	s_waitcnt vmcnt(0) lgkmcnt(0)
	global_atomic_add_x2 v2, v[0:1], s[0:1] offset:448
	s_waitcnt vmcnt(0)
	buffer_invl2
	buffer_wbinvl1_vol
.LBB7_32:
	s_endpgm
	.section	.rodata,"a",@progbits
	.p2align	6, 0x0
	.amdhsa_kernel _Z16flag_sync_kernelILi3ELi0EEvP15transfer_data_tP16profiling_data_tm
		.amdhsa_group_segment_fixed_size 0
		.amdhsa_private_segment_fixed_size 0
		.amdhsa_kernarg_size 24
		.amdhsa_user_sgpr_count 6
		.amdhsa_user_sgpr_private_segment_buffer 1
		.amdhsa_user_sgpr_dispatch_ptr 0
		.amdhsa_user_sgpr_queue_ptr 0
		.amdhsa_user_sgpr_kernarg_segment_ptr 1
		.amdhsa_user_sgpr_dispatch_id 0
		.amdhsa_user_sgpr_flat_scratch_init 0
		.amdhsa_user_sgpr_kernarg_preload_length 0
		.amdhsa_user_sgpr_kernarg_preload_offset 0
		.amdhsa_user_sgpr_private_segment_size 0
		.amdhsa_uses_dynamic_stack 0
		.amdhsa_system_sgpr_private_segment_wavefront_offset 0
		.amdhsa_system_sgpr_workgroup_id_x 1
		.amdhsa_system_sgpr_workgroup_id_y 0
		.amdhsa_system_sgpr_workgroup_id_z 0
		.amdhsa_system_sgpr_workgroup_info 0
		.amdhsa_system_vgpr_workitem_id 0
		.amdhsa_next_free_vgpr 32
		.amdhsa_next_free_sgpr 18
		.amdhsa_accum_offset 32
		.amdhsa_reserve_vcc 1
		.amdhsa_reserve_flat_scratch 0
		.amdhsa_float_round_mode_32 0
		.amdhsa_float_round_mode_16_64 0
		.amdhsa_float_denorm_mode_32 3
		.amdhsa_float_denorm_mode_16_64 3
		.amdhsa_dx10_clamp 1
		.amdhsa_ieee_mode 1
		.amdhsa_fp16_overflow 0
		.amdhsa_tg_split 0
		.amdhsa_exception_fp_ieee_invalid_op 0
		.amdhsa_exception_fp_denorm_src 0
		.amdhsa_exception_fp_ieee_div_zero 0
		.amdhsa_exception_fp_ieee_overflow 0
		.amdhsa_exception_fp_ieee_underflow 0
		.amdhsa_exception_fp_ieee_inexact 0
		.amdhsa_exception_int_div_zero 0
	.end_amdhsa_kernel
	.section	.text._Z16flag_sync_kernelILi3ELi0EEvP15transfer_data_tP16profiling_data_tm,"axG",@progbits,_Z16flag_sync_kernelILi3ELi0EEvP15transfer_data_tP16profiling_data_tm,comdat
.Lfunc_end7:
	.size	_Z16flag_sync_kernelILi3ELi0EEvP15transfer_data_tP16profiling_data_tm, .Lfunc_end7-_Z16flag_sync_kernelILi3ELi0EEvP15transfer_data_tP16profiling_data_tm
                                        ; -- End function
	.section	.AMDGPU.csdata,"",@progbits
; Kernel info:
; codeLenInByte = 1456
; NumSgprs: 22
; NumVgprs: 32
; NumAgprs: 0
; TotalNumVgprs: 32
; ScratchSize: 0
; MemoryBound: 0
; FloatMode: 240
; IeeeMode: 1
; LDSByteSize: 0 bytes/workgroup (compile time only)
; SGPRBlocks: 2
; VGPRBlocks: 3
; NumSGPRsForWavesPerEU: 22
; NumVGPRsForWavesPerEU: 32
; AccumOffset: 32
; Occupancy: 8
; WaveLimiterHint : 1
; COMPUTE_PGM_RSRC2:SCRATCH_EN: 0
; COMPUTE_PGM_RSRC2:USER_SGPR: 6
; COMPUTE_PGM_RSRC2:TRAP_HANDLER: 0
; COMPUTE_PGM_RSRC2:TGID_X_EN: 1
; COMPUTE_PGM_RSRC2:TGID_Y_EN: 0
; COMPUTE_PGM_RSRC2:TGID_Z_EN: 0
; COMPUTE_PGM_RSRC2:TIDIG_COMP_CNT: 0
; COMPUTE_PGM_RSRC3_GFX90A:ACCUM_OFFSET: 7
; COMPUTE_PGM_RSRC3_GFX90A:TG_SPLIT: 0
	.section	.text._Z16flag_sync_kernelILi3ELi1EEvP15transfer_data_tP16profiling_data_tm,"axG",@progbits,_Z16flag_sync_kernelILi3ELi1EEvP15transfer_data_tP16profiling_data_tm,comdat
	.protected	_Z16flag_sync_kernelILi3ELi1EEvP15transfer_data_tP16profiling_data_tm ; -- Begin function _Z16flag_sync_kernelILi3ELi1EEvP15transfer_data_tP16profiling_data_tm
	.globl	_Z16flag_sync_kernelILi3ELi1EEvP15transfer_data_tP16profiling_data_tm
	.p2align	8
	.type	_Z16flag_sync_kernelILi3ELi1EEvP15transfer_data_tP16profiling_data_tm,@function
_Z16flag_sync_kernelILi3ELi1EEvP15transfer_data_tP16profiling_data_tm: ; @_Z16flag_sync_kernelILi3ELi1EEvP15transfer_data_tP16profiling_data_tm
; %bb.0:
	s_load_dwordx4 s[8:11], s[4:5], 0x0
	s_load_dwordx2 s[2:3], s[4:5], 0x10
	v_cmp_eq_u32_e64 s[0:1], 0, v0
	s_waitcnt lgkmcnt(0)
	s_load_dword s18, s[8:9], 0x8c0
	s_and_saveexec_b64 s[4:5], s[0:1]
	s_cbranch_execz .LBB8_8
; %bb.1:
	s_mov_b64 s[14:15], exec
	v_mbcnt_lo_u32_b32 v1, s14, 0
	v_mbcnt_hi_u32_b32 v1, s15, v1
	v_cmp_eq_u32_e32 vcc, 0, v1
	s_and_saveexec_b64 s[12:13], vcc
	s_cbranch_execz .LBB8_3
; %bb.2:
	s_load_dword s16, s[8:9], 0x8c4
	s_load_dwordx2 s[20:21], s[8:9], 0x8d0
	v_mov_b32_e32 v3, 0
	s_waitcnt lgkmcnt(0)
	s_ashr_i32 s17, s16, 31
	s_lshl_b64 s[16:17], s[16:17], 3
	s_add_u32 s16, s20, s16
	s_addc_u32 s17, s21, s17
	s_bcnt1_i32_b64 s7, s[14:15]
	v_mov_b32_e32 v2, s7
	buffer_wbl2
	global_atomic_add_x2 v3, v[2:3], s[16:17]
	s_waitcnt vmcnt(0)
	buffer_invl2
	buffer_wbinvl1_vol
.LBB8_3:
	s_or_b64 exec, exec, s[12:13]
	v_mov_b32_e32 v1, 0
	global_load_dword v2, v1, s[8:9] offset:2248
	s_waitcnt vmcnt(0)
	v_cmp_gt_i32_e32 vcc, 1, v2
	s_cbranch_vccnz .LBB8_8
; %bb.4:
	s_mov_b32 s13, 0
	s_mov_b32 s12, s13
.LBB8_5:                                ; =>This Loop Header: Depth=1
                                        ;     Child Loop BB8_6 Depth 2
	s_lshl_b64 s[16:17], s[12:13], 3
	s_mov_b64 s[14:15], 0
	v_mov_b32_e32 v2, s17
.LBB8_6:                                ;   Parent Loop BB8_5 Depth=1
                                        ; =>  This Inner Loop Header: Depth=2
	global_load_dwordx2 v[4:5], v1, s[8:9] offset:2256
	s_waitcnt vmcnt(0)
	v_add_co_u32_e32 v4, vcc, s16, v4
	v_addc_co_u32_e32 v5, vcc, v5, v2, vcc
	s_waitcnt lgkmcnt(0)
	flat_load_dwordx2 v[4:5], v[4:5] glc
	s_waitcnt vmcnt(0) lgkmcnt(0)
	buffer_invl2
	buffer_wbinvl1_vol
	v_cmp_le_u64_e32 vcc, s[2:3], v[4:5]
	s_or_b64 s[14:15], vcc, s[14:15]
	s_andn2_b64 exec, exec, s[14:15]
	s_cbranch_execnz .LBB8_6
; %bb.7:                                ;   in Loop: Header=BB8_5 Depth=1
	s_or_b64 exec, exec, s[14:15]
	global_load_dword v2, v1, s[8:9] offset:2248
	s_add_i32 s12, s12, 1
	s_waitcnt vmcnt(0)
	v_cmp_lt_i32_e32 vcc, s12, v2
	s_cbranch_vccnz .LBB8_5
.LBB8_8:
	s_or_b64 exec, exec, s[4:5]
	s_waitcnt lgkmcnt(0)
	s_barrier
	s_waitcnt lgkmcnt(0)
                                        ; implicit-def: $sgpr2_sgpr3
	s_and_saveexec_b64 s[4:5], s[0:1]
	s_cbranch_execz .LBB8_10
; %bb.9:
	s_memrealtime s[2:3]
.LBB8_10:
	s_or_b64 exec, exec, s[4:5]
	s_ashr_i32 s7, s6, 31
	s_cmp_lt_i32 s18, 1
	s_cbranch_scc1 .LBB8_32
; %bb.11:
	s_lshl_b64 s[4:5], s[6:7], 3
	s_add_u32 s4, s8, s4
	s_addc_u32 s5, s9, s5
	v_mov_b32_e32 v1, 0
	global_load_dwordx2 v[6:7], v1, s[4:5] offset:448
	global_load_dwordx2 v[4:5], v1, s[4:5] offset:896
	;; [unrolled: 1-line block ×3, first 2 shown]
	v_lshrrev_b32_e32 v8, 6, v0
	v_and_b32_e32 v9, 63, v0
	s_mov_b32 s4, 0
	s_waitcnt vmcnt(1)
	v_or_b32_e32 v1, v4, v6
	s_waitcnt vmcnt(0)
	v_or_b32_e32 v1, v1, v2
	v_and_b32_e32 v1, 3, v1
	v_cmp_eq_u32_e32 vcc, 0, v1
	v_lshl_or_b32 v1, v8, 8, v9
	s_cbranch_vccnz .LBB8_14
; %bb.12:
	v_lshl_or_b32 v8, v8, 8, v9
	s_mov_b64 s[8:9], -1
	s_mov_b32 s14, s18
	s_cbranch_execz .LBB8_15
; %bb.13:
	s_and_b64 vcc, exec, s[8:9]
	s_cbranch_vccnz .LBB8_26
	s_branch .LBB8_32
.LBB8_14:
	s_mov_b64 s[8:9], 0
                                        ; implicit-def: $sgpr4
                                        ; implicit-def: $vgpr8
	s_mov_b32 s14, s18
.LBB8_15:
	s_lshr_b32 s4, s18, 2
	s_and_b32 s12, s4, 0x1fffff00
	v_cmp_gt_u32_e32 vcc, s12, v1
	s_and_saveexec_b64 s[4:5], vcc
	s_cbranch_execz .LBB8_18
; %bb.16:
	v_lshlrev_b32_e32 v12, 4, v1
	v_add_co_u32_e32 v8, vcc, v6, v12
	v_addc_co_u32_e32 v9, vcc, 0, v7, vcc
	v_add_co_u32_e32 v10, vcc, v4, v12
	v_addc_co_u32_e32 v11, vcc, 0, v5, vcc
	;; [unrolled: 2-line block ×3, first 2 shown]
	s_mov_b64 s[8:9], 0
	s_movk_i32 s13, 0x4000
	v_mov_b32_e32 v14, v1
.LBB8_17:                               ; =>This Inner Loop Header: Depth=1
	flat_load_dwordx4 v[16:19], v[8:9] glc slc
	flat_load_dwordx4 v[20:23], v[8:9] offset:1024 glc slc
	flat_load_dwordx4 v[24:27], v[8:9] offset:2048 glc slc
	;; [unrolled: 1-line block ×3, first 2 shown]
	v_add_u32_e32 v14, 0x400, v14
	v_cmp_le_u32_e32 vcc, s12, v14
	s_or_b64 s[8:9], vcc, s[8:9]
	s_waitcnt vmcnt(0) lgkmcnt(0)
	flat_store_dwordx4 v[10:11], v[16:19] glc slc
	flat_store_dwordx4 v[10:11], v[20:23] offset:1024 glc slc
	flat_store_dwordx4 v[10:11], v[24:27] offset:2048 glc slc
	;; [unrolled: 1-line block ×3, first 2 shown]
	flat_store_dwordx4 v[12:13], v[16:19] glc slc
	flat_store_dwordx4 v[12:13], v[20:23] offset:1024 glc slc
	flat_store_dwordx4 v[12:13], v[24:27] offset:2048 glc slc
	;; [unrolled: 1-line block ×3, first 2 shown]
	v_add_co_u32_e32 v10, vcc, s13, v10
	v_addc_co_u32_e32 v11, vcc, 0, v11, vcc
	v_add_co_u32_e32 v12, vcc, 0x4000, v12
	v_addc_co_u32_e32 v13, vcc, 0, v13, vcc
	v_add_co_u32_e32 v8, vcc, 0x4000, v8
	v_addc_co_u32_e32 v9, vcc, 0, v9, vcc
	s_andn2_b64 exec, exec, s[8:9]
	s_cbranch_execnz .LBB8_17
.LBB8_18:
	s_or_b64 exec, exec, s[4:5]
	s_lshl_b32 s4, s12, 2
	s_cmp_eq_u32 s18, s4
	s_cbranch_scc1 .LBB8_24
; %bb.19:
	s_sub_i32 s15, s18, s4
	s_ashr_i32 s14, s15, 2
	v_cmp_gt_i32_e32 vcc, s14, v0
	s_and_saveexec_b64 s[8:9], vcc
	s_cbranch_execz .LBB8_22
; %bb.20:
	s_mov_b32 s5, 0
	s_lshl_b64 s[12:13], s[4:5], 2
	v_mov_b32_e32 v12, s13
	v_add_co_u32_e32 v8, vcc, s12, v6
	v_addc_co_u32_e32 v9, vcc, v7, v12, vcc
	v_lshlrev_b32_e32 v13, 4, v0
	v_add_co_u32_e32 v8, vcc, v8, v13
	v_addc_co_u32_e32 v9, vcc, 0, v9, vcc
	v_add_co_u32_e32 v10, vcc, s12, v4
	v_addc_co_u32_e32 v11, vcc, v5, v12, vcc
	;; [unrolled: 2-line block ×5, first 2 shown]
	s_mov_b64 s[12:13], 0
	v_mov_b32_e32 v14, v0
.LBB8_21:                               ; =>This Inner Loop Header: Depth=1
	flat_load_dwordx4 v[16:19], v[8:9] glc slc
	v_add_u32_e32 v14, 0x100, v14
	v_cmp_le_i32_e32 vcc, s14, v14
	s_or_b64 s[12:13], vcc, s[12:13]
	s_waitcnt vmcnt(0) lgkmcnt(0)
	flat_store_dwordx4 v[10:11], v[16:19] glc slc
	flat_store_dwordx4 v[12:13], v[16:19] glc slc
	v_add_co_u32_e32 v10, vcc, 0x1000, v10
	v_addc_co_u32_e32 v11, vcc, 0, v11, vcc
	v_add_co_u32_e32 v12, vcc, 0x1000, v12
	v_addc_co_u32_e32 v13, vcc, 0, v13, vcc
	;; [unrolled: 2-line block ×3, first 2 shown]
	s_andn2_b64 exec, exec, s[12:13]
	s_cbranch_execnz .LBB8_21
.LBB8_22:
	s_or_b64 exec, exec, s[8:9]
	s_and_b32 s5, s18, 3
	s_cmp_eq_u32 s5, 0
	s_mov_b32 s14, 0
	s_cbranch_scc1 .LBB8_25
; %bb.23:
	s_and_b32 s8, s15, -4
	s_add_i32 s4, s8, s4
	s_mov_b32 s14, s5
	v_mov_b32_e32 v8, v1
	s_cbranch_execnz .LBB8_26
	s_branch .LBB8_32
.LBB8_24:
	s_mov_b32 s14, 0
	s_mov_b32 s4, 0
	v_mov_b32_e32 v8, v1
	s_branch .LBB8_32
.LBB8_25:
	v_mov_b32_e32 v8, v1
	s_branch .LBB8_32
.LBB8_26:
	s_and_b32 s15, s14, 0xffffff00
	v_cmp_gt_i32_e32 vcc, s15, v8
	s_and_saveexec_b64 s[8:9], vcc
	s_cbranch_execz .LBB8_29
; %bb.27:
	s_ashr_i32 s5, s4, 31
	s_lshl_b64 s[12:13], s[4:5], 2
	v_mov_b32_e32 v1, s13
	v_add_co_u32_e32 v10, vcc, s12, v6
	v_mov_b32_e32 v9, 0
	v_addc_co_u32_e32 v11, vcc, v7, v1, vcc
	v_lshlrev_b64 v[14:15], 2, v[8:9]
	v_add_co_u32_e32 v10, vcc, v10, v14
	v_addc_co_u32_e32 v11, vcc, v11, v15, vcc
	v_add_co_u32_e32 v9, vcc, s12, v4
	v_addc_co_u32_e32 v13, vcc, v5, v1, vcc
	;; [unrolled: 2-line block ×5, first 2 shown]
	s_mov_b64 s[12:13], 0
	s_movk_i32 s5, 0x1000
.LBB8_28:                               ; =>This Inner Loop Header: Depth=1
	flat_load_dword v1, v[10:11] glc slc
	flat_load_dword v9, v[10:11] offset:256 glc slc
	flat_load_dword v16, v[10:11] offset:512 glc slc
	;; [unrolled: 1-line block ×3, first 2 shown]
	v_add_u32_e32 v8, 0x400, v8
	v_cmp_le_i32_e32 vcc, s15, v8
	s_or_b64 s[12:13], vcc, s[12:13]
	s_waitcnt vmcnt(0) lgkmcnt(0)
	flat_store_dword v[12:13], v1 glc slc
	flat_store_dword v[12:13], v9 offset:256 glc slc
	flat_store_dword v[12:13], v16 offset:512 glc slc
	;; [unrolled: 1-line block ×3, first 2 shown]
	flat_store_dword v[14:15], v1 glc slc
	flat_store_dword v[14:15], v9 offset:256 glc slc
	flat_store_dword v[14:15], v16 offset:512 glc slc
	;; [unrolled: 1-line block ×3, first 2 shown]
	v_add_co_u32_e32 v12, vcc, s5, v12
	v_addc_co_u32_e32 v13, vcc, 0, v13, vcc
	v_add_co_u32_e32 v14, vcc, 0x1000, v14
	v_addc_co_u32_e32 v15, vcc, 0, v15, vcc
	;; [unrolled: 2-line block ×3, first 2 shown]
	s_andn2_b64 exec, exec, s[12:13]
	s_cbranch_execnz .LBB8_28
.LBB8_29:
	s_or_b64 exec, exec, s[8:9]
	s_and_b32 s5, s14, 0xff
	v_cmp_gt_u32_e32 vcc, s5, v0
	s_and_saveexec_b64 s[8:9], vcc
	s_cbranch_execz .LBB8_31
; %bb.30:
	s_add_i32 s4, s15, s4
	s_ashr_i32 s5, s4, 31
	s_lshl_b64 s[4:5], s[4:5], 2
	v_mov_b32_e32 v8, s5
	v_add_co_u32_e32 v1, vcc, s4, v6
	v_addc_co_u32_e32 v6, vcc, v7, v8, vcc
	v_lshlrev_b32_e32 v7, 2, v0
	v_add_co_u32_e32 v0, vcc, v1, v7
	v_addc_co_u32_e32 v1, vcc, 0, v6, vcc
	flat_load_dword v6, v[0:1] glc slc
	v_add_co_u32_e32 v0, vcc, s4, v4
	v_addc_co_u32_e32 v1, vcc, v5, v8, vcc
	v_add_co_u32_e32 v2, vcc, s4, v2
	v_addc_co_u32_e32 v3, vcc, v3, v8, vcc
	;; [unrolled: 2-line block ×4, first 2 shown]
	s_waitcnt vmcnt(0) lgkmcnt(0)
	flat_store_dword v[0:1], v6 glc slc
	flat_store_dword v[2:3], v6 glc slc
.LBB8_31:
	s_or_b64 exec, exec, s[8:9]
.LBB8_32:
	s_waitcnt lgkmcnt(0)
	s_barrier
	s_and_saveexec_b64 s[4:5], s[0:1]
	s_cbranch_execz .LBB8_37
; %bb.33:
	s_lshl_b64 s[0:1], s[6:7], 3
	s_memrealtime s[6:7]
	s_mov_b64 s[8:9], exec
	v_mbcnt_lo_u32_b32 v0, s8, 0
	s_add_u32 s0, s10, s0
	v_mbcnt_hi_u32_b32 v0, s9, v0
	s_addc_u32 s1, s11, s1
	v_cmp_eq_u32_e32 vcc, 0, v0
	s_and_saveexec_b64 s[4:5], vcc
	s_cbranch_execz .LBB8_35
; %bb.34:
	s_waitcnt lgkmcnt(0)
	s_sub_u32 s2, s6, s2
	s_subb_u32 s3, s7, s3
	s_bcnt1_i32_b64 s6, s[8:9]
	s_mul_i32 s3, s3, s6
	s_mul_hi_u32 s7, s2, s6
	s_add_i32 s7, s7, s3
	s_mul_i32 s2, s2, s6
	v_mov_b32_e32 v0, s2
	v_mov_b32_e32 v1, s7
	;; [unrolled: 1-line block ×3, first 2 shown]
	buffer_wbl2
	s_waitcnt vmcnt(0)
	global_atomic_add_x2 v2, v[0:1], s[0:1]
	s_waitcnt vmcnt(0)
	buffer_invl2
	buffer_wbinvl1_vol
.LBB8_35:
	s_or_b64 exec, exec, s[4:5]
	s_mov_b64 s[2:3], exec
	v_mbcnt_lo_u32_b32 v0, s2, 0
	v_mbcnt_hi_u32_b32 v0, s3, v0
	v_cmp_eq_u32_e32 vcc, 0, v0
	s_and_b64 s[4:5], exec, vcc
	s_mov_b64 exec, s[4:5]
	s_cbranch_execz .LBB8_37
; %bb.36:
	s_bcnt1_i32_b64 s2, s[2:3]
	s_mul_hi_i32 s3, s18, s2
	s_mul_i32 s2, s18, s2
	s_lshl_b64 s[2:3], s[2:3], 2
	v_mov_b32_e32 v2, 0
	v_pk_mov_b32 v[0:1], s[2:3], s[2:3] op_sel:[0,1]
	buffer_wbl2
	s_waitcnt vmcnt(0) lgkmcnt(0)
	global_atomic_add_x2 v2, v[0:1], s[0:1] offset:448
	s_waitcnt vmcnt(0)
	buffer_invl2
	buffer_wbinvl1_vol
.LBB8_37:
	s_endpgm
	.section	.rodata,"a",@progbits
	.p2align	6, 0x0
	.amdhsa_kernel _Z16flag_sync_kernelILi3ELi1EEvP15transfer_data_tP16profiling_data_tm
		.amdhsa_group_segment_fixed_size 0
		.amdhsa_private_segment_fixed_size 0
		.amdhsa_kernarg_size 24
		.amdhsa_user_sgpr_count 6
		.amdhsa_user_sgpr_private_segment_buffer 1
		.amdhsa_user_sgpr_dispatch_ptr 0
		.amdhsa_user_sgpr_queue_ptr 0
		.amdhsa_user_sgpr_kernarg_segment_ptr 1
		.amdhsa_user_sgpr_dispatch_id 0
		.amdhsa_user_sgpr_flat_scratch_init 0
		.amdhsa_user_sgpr_kernarg_preload_length 0
		.amdhsa_user_sgpr_kernarg_preload_offset 0
		.amdhsa_user_sgpr_private_segment_size 0
		.amdhsa_uses_dynamic_stack 0
		.amdhsa_system_sgpr_private_segment_wavefront_offset 0
		.amdhsa_system_sgpr_workgroup_id_x 1
		.amdhsa_system_sgpr_workgroup_id_y 0
		.amdhsa_system_sgpr_workgroup_id_z 0
		.amdhsa_system_sgpr_workgroup_info 0
		.amdhsa_system_vgpr_workitem_id 0
		.amdhsa_next_free_vgpr 32
		.amdhsa_next_free_sgpr 22
		.amdhsa_accum_offset 32
		.amdhsa_reserve_vcc 1
		.amdhsa_reserve_flat_scratch 0
		.amdhsa_float_round_mode_32 0
		.amdhsa_float_round_mode_16_64 0
		.amdhsa_float_denorm_mode_32 3
		.amdhsa_float_denorm_mode_16_64 3
		.amdhsa_dx10_clamp 1
		.amdhsa_ieee_mode 1
		.amdhsa_fp16_overflow 0
		.amdhsa_tg_split 0
		.amdhsa_exception_fp_ieee_invalid_op 0
		.amdhsa_exception_fp_denorm_src 0
		.amdhsa_exception_fp_ieee_div_zero 0
		.amdhsa_exception_fp_ieee_overflow 0
		.amdhsa_exception_fp_ieee_underflow 0
		.amdhsa_exception_fp_ieee_inexact 0
		.amdhsa_exception_int_div_zero 0
	.end_amdhsa_kernel
	.section	.text._Z16flag_sync_kernelILi3ELi1EEvP15transfer_data_tP16profiling_data_tm,"axG",@progbits,_Z16flag_sync_kernelILi3ELi1EEvP15transfer_data_tP16profiling_data_tm,comdat
.Lfunc_end8:
	.size	_Z16flag_sync_kernelILi3ELi1EEvP15transfer_data_tP16profiling_data_tm, .Lfunc_end8-_Z16flag_sync_kernelILi3ELi1EEvP15transfer_data_tP16profiling_data_tm
                                        ; -- End function
	.section	.AMDGPU.csdata,"",@progbits
; Kernel info:
; codeLenInByte = 1608
; NumSgprs: 26
; NumVgprs: 32
; NumAgprs: 0
; TotalNumVgprs: 32
; ScratchSize: 0
; MemoryBound: 0
; FloatMode: 240
; IeeeMode: 1
; LDSByteSize: 0 bytes/workgroup (compile time only)
; SGPRBlocks: 3
; VGPRBlocks: 3
; NumSGPRsForWavesPerEU: 26
; NumVGPRsForWavesPerEU: 32
; AccumOffset: 32
; Occupancy: 8
; WaveLimiterHint : 1
; COMPUTE_PGM_RSRC2:SCRATCH_EN: 0
; COMPUTE_PGM_RSRC2:USER_SGPR: 6
; COMPUTE_PGM_RSRC2:TRAP_HANDLER: 0
; COMPUTE_PGM_RSRC2:TGID_X_EN: 1
; COMPUTE_PGM_RSRC2:TGID_Y_EN: 0
; COMPUTE_PGM_RSRC2:TGID_Z_EN: 0
; COMPUTE_PGM_RSRC2:TIDIG_COMP_CNT: 0
; COMPUTE_PGM_RSRC3_GFX90A:ACCUM_OFFSET: 7
; COMPUTE_PGM_RSRC3_GFX90A:TG_SPLIT: 0
	.section	.text._Z16flag_sync_kernelILi4ELi0EEvP15transfer_data_tP16profiling_data_tm,"axG",@progbits,_Z16flag_sync_kernelILi4ELi0EEvP15transfer_data_tP16profiling_data_tm,comdat
	.protected	_Z16flag_sync_kernelILi4ELi0EEvP15transfer_data_tP16profiling_data_tm ; -- Begin function _Z16flag_sync_kernelILi4ELi0EEvP15transfer_data_tP16profiling_data_tm
	.globl	_Z16flag_sync_kernelILi4ELi0EEvP15transfer_data_tP16profiling_data_tm
	.p2align	8
	.type	_Z16flag_sync_kernelILi4ELi0EEvP15transfer_data_tP16profiling_data_tm,@function
_Z16flag_sync_kernelILi4ELi0EEvP15transfer_data_tP16profiling_data_tm: ; @_Z16flag_sync_kernelILi4ELi0EEvP15transfer_data_tP16profiling_data_tm
; %bb.0:
	s_load_dwordx4 s[8:11], s[4:5], 0x0
	v_cmp_eq_u32_e64 s[0:1], 0, v0
	s_waitcnt lgkmcnt(0)
	s_load_dword s16, s[8:9], 0x8c0
	s_and_saveexec_b64 s[2:3], s[0:1]
	s_cbranch_execz .LBB9_3
; %bb.1:
	s_mov_b64 s[4:5], exec
	v_mbcnt_lo_u32_b32 v1, s4, 0
	v_mbcnt_hi_u32_b32 v1, s5, v1
	v_cmp_eq_u32_e32 vcc, 0, v1
	s_and_b64 s[12:13], exec, vcc
	s_mov_b64 exec, s[12:13]
	s_cbranch_execz .LBB9_3
; %bb.2:
	s_load_dword s12, s[8:9], 0x8c4
	s_load_dwordx2 s[14:15], s[8:9], 0x8d0
	v_mov_b32_e32 v3, 0
	s_waitcnt lgkmcnt(0)
	s_ashr_i32 s13, s12, 31
	s_lshl_b64 s[12:13], s[12:13], 3
	s_add_u32 s12, s14, s12
	s_addc_u32 s13, s15, s13
	s_bcnt1_i32_b64 s4, s[4:5]
	v_mov_b32_e32 v2, s4
	buffer_wbl2
	global_atomic_add_x2 v3, v[2:3], s[12:13]
	s_waitcnt vmcnt(0)
	buffer_invl2
	buffer_wbinvl1_vol
.LBB9_3:
	s_or_b64 exec, exec, s[2:3]
	s_waitcnt lgkmcnt(0)
	s_barrier
	s_waitcnt lgkmcnt(0)
                                        ; implicit-def: $sgpr4_sgpr5
	s_and_saveexec_b64 s[2:3], s[0:1]
	s_cbranch_execz .LBB9_5
; %bb.4:
	s_memrealtime s[4:5]
.LBB9_5:
	s_or_b64 exec, exec, s[2:3]
	s_ashr_i32 s7, s6, 31
	s_cmp_lt_i32 s16, 1
	s_cbranch_scc1 .LBB9_27
; %bb.6:
	s_lshl_b64 s[2:3], s[6:7], 3
	s_add_u32 s2, s8, s2
	s_addc_u32 s3, s9, s3
	v_mov_b32_e32 v1, 0
	global_load_dwordx2 v[4:5], v1, s[2:3] offset:1792
	global_load_dwordx2 v[6:7], v1, s[2:3] offset:448
	global_load_dwordx2 v[2:3], v1, s[2:3]
	v_lshrrev_b32_e32 v8, 6, v0
	v_and_b32_e32 v9, 63, v0
	s_mov_b32 s8, 0
	s_waitcnt vmcnt(1)
	v_or_b32_e32 v1, v4, v6
	s_waitcnt vmcnt(0)
	v_or_b32_e32 v1, v1, v2
	v_and_b32_e32 v1, 3, v1
	v_cmp_eq_u32_e32 vcc, 0, v1
	v_lshl_or_b32 v1, v8, 8, v9
	s_cbranch_vccnz .LBB9_9
; %bb.7:
	v_lshl_or_b32 v8, v8, 8, v9
	s_mov_b64 s[2:3], -1
	s_mov_b32 s17, s16
	s_cbranch_execz .LBB9_10
; %bb.8:
	s_and_b64 vcc, exec, s[2:3]
	s_cbranch_vccnz .LBB9_21
	s_branch .LBB9_27
.LBB9_9:
	s_mov_b64 s[2:3], 0
                                        ; implicit-def: $sgpr17
                                        ; implicit-def: $sgpr8
                                        ; implicit-def: $vgpr8
.LBB9_10:
	s_lshr_b32 s2, s16, 2
	s_and_b32 s14, s2, 0x1fffff00
	v_cmp_gt_u32_e32 vcc, s14, v1
	s_and_saveexec_b64 s[8:9], vcc
	s_cbranch_execz .LBB9_13
; %bb.11:
	v_lshlrev_b32_e32 v12, 4, v1
	v_add_co_u32_e32 v8, vcc, v2, v12
	v_addc_co_u32_e32 v9, vcc, 0, v3, vcc
	v_add_co_u32_e32 v10, vcc, v6, v12
	v_addc_co_u32_e32 v11, vcc, 0, v7, vcc
	;; [unrolled: 2-line block ×3, first 2 shown]
	s_mov_b64 s[12:13], 0
	s_movk_i32 s15, 0x4000
	v_mov_b32_e32 v14, v1
.LBB9_12:                               ; =>This Inner Loop Header: Depth=1
	flat_load_dwordx4 v[16:19], v[12:13] glc slc
	flat_load_dwordx4 v[20:23], v[10:11] glc slc
	flat_load_dwordx4 v[24:27], v[10:11] offset:1024 glc slc
	flat_load_dwordx4 v[28:31], v[12:13] offset:1024 glc slc
	flat_load_dwordx4 v[32:35], v[12:13] offset:2048 glc slc
	flat_load_dwordx4 v[36:39], v[10:11] offset:2048 glc slc
	flat_load_dwordx4 v[40:43], v[10:11] offset:3072 glc slc
	flat_load_dwordx4 v[44:47], v[12:13] offset:3072 glc slc
	v_add_co_u32_e32 v10, vcc, s15, v10
	v_addc_co_u32_e32 v11, vcc, 0, v11, vcc
	v_add_co_u32_e32 v12, vcc, 0x4000, v12
	v_add_u32_e32 v14, 0x400, v14
	v_addc_co_u32_e32 v13, vcc, 0, v13, vcc
	v_cmp_le_u32_e64 s[2:3], s14, v14
	s_or_b64 s[12:13], s[2:3], s[12:13]
	s_waitcnt vmcnt(0) lgkmcnt(0)
	v_add_f32_e32 v16, v20, v16
	v_add_f32_e32 v17, v21, v17
	;; [unrolled: 1-line block ×16, first 2 shown]
	flat_store_dwordx4 v[8:9], v[16:19] glc slc
	flat_store_dwordx4 v[8:9], v[20:23] offset:1024 glc slc
	flat_store_dwordx4 v[8:9], v[24:27] offset:2048 glc slc
	;; [unrolled: 1-line block ×3, first 2 shown]
	v_add_co_u32_e32 v8, vcc, 0x4000, v8
	v_addc_co_u32_e32 v9, vcc, 0, v9, vcc
	s_andn2_b64 exec, exec, s[12:13]
	s_cbranch_execnz .LBB9_12
.LBB9_13:
	s_or_b64 exec, exec, s[8:9]
	s_lshl_b32 s8, s14, 2
	s_cmp_eq_u32 s16, s8
	s_cbranch_scc1 .LBB9_19
; %bb.14:
	s_sub_i32 s18, s16, s8
	s_ashr_i32 s17, s18, 2
	v_cmp_gt_i32_e32 vcc, s17, v0
	s_and_saveexec_b64 s[12:13], vcc
	s_cbranch_execz .LBB9_17
; %bb.15:
	s_mov_b32 s9, 0
	s_lshl_b64 s[2:3], s[8:9], 2
	v_mov_b32_e32 v12, s3
	v_add_co_u32_e32 v8, vcc, s2, v2
	v_addc_co_u32_e32 v9, vcc, v3, v12, vcc
	v_lshlrev_b32_e32 v13, 4, v0
	v_add_co_u32_e32 v8, vcc, v8, v13
	v_addc_co_u32_e32 v9, vcc, 0, v9, vcc
	v_add_co_u32_e32 v10, vcc, s2, v6
	v_addc_co_u32_e32 v11, vcc, v7, v12, vcc
	;; [unrolled: 2-line block ×5, first 2 shown]
	s_mov_b64 s[14:15], 0
	s_movk_i32 s9, 0x1000
	v_mov_b32_e32 v14, v0
.LBB9_16:                               ; =>This Inner Loop Header: Depth=1
	flat_load_dwordx4 v[16:19], v[10:11] glc slc
	flat_load_dwordx4 v[20:23], v[12:13] glc slc
	v_add_co_u32_e32 v10, vcc, s9, v10
	v_addc_co_u32_e32 v11, vcc, 0, v11, vcc
	v_add_co_u32_e32 v12, vcc, 0x1000, v12
	v_add_u32_e32 v14, 0x100, v14
	v_addc_co_u32_e32 v13, vcc, 0, v13, vcc
	v_cmp_le_i32_e64 s[2:3], s17, v14
	s_or_b64 s[14:15], s[2:3], s[14:15]
	s_waitcnt vmcnt(0) lgkmcnt(0)
	v_add_f32_e32 v16, v16, v20
	v_add_f32_e32 v17, v17, v21
	;; [unrolled: 1-line block ×4, first 2 shown]
	flat_store_dwordx4 v[8:9], v[16:19] glc slc
	v_add_co_u32_e32 v8, vcc, 0x1000, v8
	v_addc_co_u32_e32 v9, vcc, 0, v9, vcc
	s_andn2_b64 exec, exec, s[14:15]
	s_cbranch_execnz .LBB9_16
.LBB9_17:
	s_or_b64 exec, exec, s[12:13]
	s_and_b32 s9, s16, 3
	s_cmp_eq_u32 s9, 0
	s_mov_b32 s17, 0
	s_cbranch_scc1 .LBB9_20
; %bb.18:
	s_and_b32 s2, s18, -4
	s_add_i32 s8, s2, s8
	s_mov_b32 s17, s9
	v_mov_b32_e32 v8, v1
	s_cbranch_execnz .LBB9_21
	s_branch .LBB9_27
.LBB9_19:
	s_mov_b32 s17, 0
	s_mov_b32 s8, 0
	v_mov_b32_e32 v8, v1
	s_branch .LBB9_27
.LBB9_20:
	v_mov_b32_e32 v8, v1
	s_branch .LBB9_27
.LBB9_21:
	s_and_b32 s18, s17, 0xffffff00
	v_cmp_gt_i32_e32 vcc, s18, v8
	s_and_saveexec_b64 s[12:13], vcc
	s_cbranch_execz .LBB9_24
; %bb.22:
	s_ashr_i32 s9, s8, 31
	s_lshl_b64 s[2:3], s[8:9], 2
	v_mov_b32_e32 v1, s3
	v_add_co_u32_e32 v10, vcc, s2, v2
	v_mov_b32_e32 v9, 0
	v_addc_co_u32_e32 v11, vcc, v3, v1, vcc
	v_lshlrev_b64 v[14:15], 2, v[8:9]
	v_add_co_u32_e32 v10, vcc, v10, v14
	v_addc_co_u32_e32 v11, vcc, v11, v15, vcc
	v_add_co_u32_e32 v9, vcc, s2, v6
	v_addc_co_u32_e32 v13, vcc, v7, v1, vcc
	;; [unrolled: 2-line block ×5, first 2 shown]
	s_mov_b64 s[14:15], 0
	s_movk_i32 s9, 0x1000
.LBB9_23:                               ; =>This Inner Loop Header: Depth=1
	flat_load_dword v1, v[12:13] glc slc
	flat_load_dword v9, v[12:13] offset:256 glc slc
	flat_load_dword v16, v[12:13] offset:512 glc slc
	;; [unrolled: 1-line block ×3, first 2 shown]
	flat_load_dword v18, v[14:15] glc slc
	flat_load_dword v19, v[14:15] offset:256 glc slc
	flat_load_dword v20, v[14:15] offset:512 glc slc
	;; [unrolled: 1-line block ×3, first 2 shown]
	v_add_co_u32_e32 v12, vcc, s9, v12
	v_addc_co_u32_e32 v13, vcc, 0, v13, vcc
	v_add_co_u32_e32 v14, vcc, 0x1000, v14
	v_add_u32_e32 v8, 0x400, v8
	v_addc_co_u32_e32 v15, vcc, 0, v15, vcc
	v_cmp_le_i32_e64 s[2:3], s18, v8
	s_or_b64 s[14:15], s[2:3], s[14:15]
	s_waitcnt vmcnt(0) lgkmcnt(0)
	v_add_f32_e32 v1, v1, v18
	v_add_f32_e32 v9, v9, v19
	v_add_f32_e32 v16, v16, v20
	v_add_f32_e32 v17, v17, v21
	flat_store_dword v[10:11], v1 glc slc
	flat_store_dword v[10:11], v9 offset:256 glc slc
	flat_store_dword v[10:11], v16 offset:512 glc slc
	;; [unrolled: 1-line block ×3, first 2 shown]
	v_add_co_u32_e32 v10, vcc, 0x1000, v10
	v_addc_co_u32_e32 v11, vcc, 0, v11, vcc
	s_andn2_b64 exec, exec, s[14:15]
	s_cbranch_execnz .LBB9_23
.LBB9_24:
	s_or_b64 exec, exec, s[12:13]
	s_and_b32 s2, s17, 0xff
	v_cmp_gt_u32_e32 vcc, s2, v0
	s_and_saveexec_b64 s[2:3], vcc
	s_cbranch_execz .LBB9_26
; %bb.25:
	s_add_i32 s8, s18, s8
	s_ashr_i32 s9, s8, 31
	s_lshl_b64 s[8:9], s[8:9], 2
	v_mov_b32_e32 v8, s9
	v_lshlrev_b32_e32 v9, 2, v0
	v_add_co_u32_e32 v0, vcc, s8, v6
	v_addc_co_u32_e32 v1, vcc, v7, v8, vcc
	v_add_co_u32_e32 v0, vcc, v0, v9
	v_addc_co_u32_e32 v1, vcc, 0, v1, vcc
	;; [unrolled: 2-line block ×4, first 2 shown]
	flat_load_dword v6, v[0:1] glc slc
	flat_load_dword v7, v[4:5] glc slc
	v_add_co_u32_e32 v0, vcc, s8, v2
	v_addc_co_u32_e32 v1, vcc, v3, v8, vcc
	v_add_co_u32_e32 v0, vcc, v0, v9
	v_addc_co_u32_e32 v1, vcc, 0, v1, vcc
	s_waitcnt vmcnt(0) lgkmcnt(0)
	v_add_f32_e32 v2, v6, v7
	flat_store_dword v[0:1], v2 glc slc
.LBB9_26:
	s_or_b64 exec, exec, s[2:3]
.LBB9_27:
	s_waitcnt lgkmcnt(0)
	s_barrier
	s_and_saveexec_b64 s[2:3], s[0:1]
	s_cbranch_execz .LBB9_32
; %bb.28:
	s_lshl_b64 s[0:1], s[6:7], 3
	s_memrealtime s[6:7]
	s_mov_b64 s[8:9], exec
	v_mbcnt_lo_u32_b32 v0, s8, 0
	s_add_u32 s0, s10, s0
	v_mbcnt_hi_u32_b32 v0, s9, v0
	s_addc_u32 s1, s11, s1
	v_cmp_eq_u32_e32 vcc, 0, v0
	s_and_saveexec_b64 s[2:3], vcc
	s_cbranch_execz .LBB9_30
; %bb.29:
	s_waitcnt lgkmcnt(0)
	s_sub_u32 s4, s6, s4
	s_subb_u32 s5, s7, s5
	s_bcnt1_i32_b64 s6, s[8:9]
	s_mul_i32 s5, s5, s6
	s_mul_hi_u32 s7, s4, s6
	s_add_i32 s7, s7, s5
	s_mul_i32 s4, s4, s6
	v_mov_b32_e32 v0, s4
	v_mov_b32_e32 v1, s7
	;; [unrolled: 1-line block ×3, first 2 shown]
	buffer_wbl2
	s_waitcnt vmcnt(0)
	global_atomic_add_x2 v2, v[0:1], s[0:1]
	s_waitcnt vmcnt(0)
	buffer_invl2
	buffer_wbinvl1_vol
.LBB9_30:
	s_or_b64 exec, exec, s[2:3]
	s_mov_b64 s[2:3], exec
	v_mbcnt_lo_u32_b32 v0, s2, 0
	v_mbcnt_hi_u32_b32 v0, s3, v0
	v_cmp_eq_u32_e32 vcc, 0, v0
	s_and_b64 s[4:5], exec, vcc
	s_mov_b64 exec, s[4:5]
	s_cbranch_execz .LBB9_32
; %bb.31:
	s_bcnt1_i32_b64 s2, s[2:3]
	s_mul_hi_i32 s3, s16, s2
	s_mul_i32 s2, s16, s2
	s_lshl_b64 s[2:3], s[2:3], 2
	v_mov_b32_e32 v2, 0
	v_pk_mov_b32 v[0:1], s[2:3], s[2:3] op_sel:[0,1]
	buffer_wbl2
	s_waitcnt vmcnt(0) lgkmcnt(0)
	global_atomic_add_x2 v2, v[0:1], s[0:1] offset:448
	s_waitcnt vmcnt(0)
	buffer_invl2
	buffer_wbinvl1_vol
.LBB9_32:
	s_endpgm
	.section	.rodata,"a",@progbits
	.p2align	6, 0x0
	.amdhsa_kernel _Z16flag_sync_kernelILi4ELi0EEvP15transfer_data_tP16profiling_data_tm
		.amdhsa_group_segment_fixed_size 0
		.amdhsa_private_segment_fixed_size 0
		.amdhsa_kernarg_size 24
		.amdhsa_user_sgpr_count 6
		.amdhsa_user_sgpr_private_segment_buffer 1
		.amdhsa_user_sgpr_dispatch_ptr 0
		.amdhsa_user_sgpr_queue_ptr 0
		.amdhsa_user_sgpr_kernarg_segment_ptr 1
		.amdhsa_user_sgpr_dispatch_id 0
		.amdhsa_user_sgpr_flat_scratch_init 0
		.amdhsa_user_sgpr_kernarg_preload_length 0
		.amdhsa_user_sgpr_kernarg_preload_offset 0
		.amdhsa_user_sgpr_private_segment_size 0
		.amdhsa_uses_dynamic_stack 0
		.amdhsa_system_sgpr_private_segment_wavefront_offset 0
		.amdhsa_system_sgpr_workgroup_id_x 1
		.amdhsa_system_sgpr_workgroup_id_y 0
		.amdhsa_system_sgpr_workgroup_id_z 0
		.amdhsa_system_sgpr_workgroup_info 0
		.amdhsa_system_vgpr_workitem_id 0
		.amdhsa_next_free_vgpr 48
		.amdhsa_next_free_sgpr 19
		.amdhsa_accum_offset 48
		.amdhsa_reserve_vcc 1
		.amdhsa_reserve_flat_scratch 0
		.amdhsa_float_round_mode_32 0
		.amdhsa_float_round_mode_16_64 0
		.amdhsa_float_denorm_mode_32 3
		.amdhsa_float_denorm_mode_16_64 3
		.amdhsa_dx10_clamp 1
		.amdhsa_ieee_mode 1
		.amdhsa_fp16_overflow 0
		.amdhsa_tg_split 0
		.amdhsa_exception_fp_ieee_invalid_op 0
		.amdhsa_exception_fp_denorm_src 0
		.amdhsa_exception_fp_ieee_div_zero 0
		.amdhsa_exception_fp_ieee_overflow 0
		.amdhsa_exception_fp_ieee_underflow 0
		.amdhsa_exception_fp_ieee_inexact 0
		.amdhsa_exception_int_div_zero 0
	.end_amdhsa_kernel
	.section	.text._Z16flag_sync_kernelILi4ELi0EEvP15transfer_data_tP16profiling_data_tm,"axG",@progbits,_Z16flag_sync_kernelILi4ELi0EEvP15transfer_data_tP16profiling_data_tm,comdat
.Lfunc_end9:
	.size	_Z16flag_sync_kernelILi4ELi0EEvP15transfer_data_tP16profiling_data_tm, .Lfunc_end9-_Z16flag_sync_kernelILi4ELi0EEvP15transfer_data_tP16profiling_data_tm
                                        ; -- End function
	.section	.AMDGPU.csdata,"",@progbits
; Kernel info:
; codeLenInByte = 1568
; NumSgprs: 23
; NumVgprs: 48
; NumAgprs: 0
; TotalNumVgprs: 48
; ScratchSize: 0
; MemoryBound: 0
; FloatMode: 240
; IeeeMode: 1
; LDSByteSize: 0 bytes/workgroup (compile time only)
; SGPRBlocks: 2
; VGPRBlocks: 5
; NumSGPRsForWavesPerEU: 23
; NumVGPRsForWavesPerEU: 48
; AccumOffset: 48
; Occupancy: 8
; WaveLimiterHint : 1
; COMPUTE_PGM_RSRC2:SCRATCH_EN: 0
; COMPUTE_PGM_RSRC2:USER_SGPR: 6
; COMPUTE_PGM_RSRC2:TRAP_HANDLER: 0
; COMPUTE_PGM_RSRC2:TGID_X_EN: 1
; COMPUTE_PGM_RSRC2:TGID_Y_EN: 0
; COMPUTE_PGM_RSRC2:TGID_Z_EN: 0
; COMPUTE_PGM_RSRC2:TIDIG_COMP_CNT: 0
; COMPUTE_PGM_RSRC3_GFX90A:ACCUM_OFFSET: 11
; COMPUTE_PGM_RSRC3_GFX90A:TG_SPLIT: 0
	.section	.text._Z16flag_sync_kernelILi4ELi1EEvP15transfer_data_tP16profiling_data_tm,"axG",@progbits,_Z16flag_sync_kernelILi4ELi1EEvP15transfer_data_tP16profiling_data_tm,comdat
	.protected	_Z16flag_sync_kernelILi4ELi1EEvP15transfer_data_tP16profiling_data_tm ; -- Begin function _Z16flag_sync_kernelILi4ELi1EEvP15transfer_data_tP16profiling_data_tm
	.globl	_Z16flag_sync_kernelILi4ELi1EEvP15transfer_data_tP16profiling_data_tm
	.p2align	8
	.type	_Z16flag_sync_kernelILi4ELi1EEvP15transfer_data_tP16profiling_data_tm,@function
_Z16flag_sync_kernelILi4ELi1EEvP15transfer_data_tP16profiling_data_tm: ; @_Z16flag_sync_kernelILi4ELi1EEvP15transfer_data_tP16profiling_data_tm
; %bb.0:
	s_load_dwordx4 s[8:11], s[4:5], 0x0
	s_load_dwordx2 s[2:3], s[4:5], 0x10
	v_cmp_eq_u32_e64 s[0:1], 0, v0
	s_waitcnt lgkmcnt(0)
	s_load_dword s18, s[8:9], 0x8c0
	s_and_saveexec_b64 s[4:5], s[0:1]
	s_cbranch_execz .LBB10_8
; %bb.1:
	s_mov_b64 s[14:15], exec
	v_mbcnt_lo_u32_b32 v1, s14, 0
	v_mbcnt_hi_u32_b32 v1, s15, v1
	v_cmp_eq_u32_e32 vcc, 0, v1
	s_and_saveexec_b64 s[12:13], vcc
	s_cbranch_execz .LBB10_3
; %bb.2:
	s_load_dword s16, s[8:9], 0x8c4
	s_load_dwordx2 s[20:21], s[8:9], 0x8d0
	v_mov_b32_e32 v3, 0
	s_waitcnt lgkmcnt(0)
	s_ashr_i32 s17, s16, 31
	s_lshl_b64 s[16:17], s[16:17], 3
	s_add_u32 s16, s20, s16
	s_addc_u32 s17, s21, s17
	s_bcnt1_i32_b64 s7, s[14:15]
	v_mov_b32_e32 v2, s7
	buffer_wbl2
	global_atomic_add_x2 v3, v[2:3], s[16:17]
	s_waitcnt vmcnt(0)
	buffer_invl2
	buffer_wbinvl1_vol
.LBB10_3:
	s_or_b64 exec, exec, s[12:13]
	v_mov_b32_e32 v1, 0
	global_load_dword v2, v1, s[8:9] offset:2248
	s_waitcnt vmcnt(0)
	v_cmp_gt_i32_e32 vcc, 1, v2
	s_cbranch_vccnz .LBB10_8
; %bb.4:
	s_mov_b32 s13, 0
	s_mov_b32 s12, s13
.LBB10_5:                               ; =>This Loop Header: Depth=1
                                        ;     Child Loop BB10_6 Depth 2
	s_lshl_b64 s[16:17], s[12:13], 3
	s_mov_b64 s[14:15], 0
	v_mov_b32_e32 v2, s17
.LBB10_6:                               ;   Parent Loop BB10_5 Depth=1
                                        ; =>  This Inner Loop Header: Depth=2
	global_load_dwordx2 v[4:5], v1, s[8:9] offset:2256
	s_waitcnt vmcnt(0)
	v_add_co_u32_e32 v4, vcc, s16, v4
	v_addc_co_u32_e32 v5, vcc, v5, v2, vcc
	s_waitcnt lgkmcnt(0)
	flat_load_dwordx2 v[4:5], v[4:5] glc
	s_waitcnt vmcnt(0) lgkmcnt(0)
	buffer_invl2
	buffer_wbinvl1_vol
	v_cmp_le_u64_e32 vcc, s[2:3], v[4:5]
	s_or_b64 s[14:15], vcc, s[14:15]
	s_andn2_b64 exec, exec, s[14:15]
	s_cbranch_execnz .LBB10_6
; %bb.7:                                ;   in Loop: Header=BB10_5 Depth=1
	s_or_b64 exec, exec, s[14:15]
	global_load_dword v2, v1, s[8:9] offset:2248
	s_add_i32 s12, s12, 1
	s_waitcnt vmcnt(0)
	v_cmp_lt_i32_e32 vcc, s12, v2
	s_cbranch_vccnz .LBB10_5
.LBB10_8:
	s_or_b64 exec, exec, s[4:5]
	s_waitcnt lgkmcnt(0)
	s_barrier
	s_waitcnt lgkmcnt(0)
                                        ; implicit-def: $sgpr4_sgpr5
	s_and_saveexec_b64 s[2:3], s[0:1]
	s_cbranch_execz .LBB10_10
; %bb.9:
	s_memrealtime s[4:5]
.LBB10_10:
	s_or_b64 exec, exec, s[2:3]
	s_ashr_i32 s7, s6, 31
	s_cmp_lt_i32 s18, 1
	s_cbranch_scc1 .LBB10_32
; %bb.11:
	s_lshl_b64 s[2:3], s[6:7], 3
	s_add_u32 s2, s8, s2
	s_addc_u32 s3, s9, s3
	v_mov_b32_e32 v1, 0
	global_load_dwordx2 v[4:5], v1, s[2:3] offset:1792
	global_load_dwordx2 v[6:7], v1, s[2:3] offset:448
	global_load_dwordx2 v[2:3], v1, s[2:3]
	v_lshrrev_b32_e32 v8, 6, v0
	v_and_b32_e32 v9, 63, v0
	s_mov_b32 s8, 0
	s_waitcnt vmcnt(1)
	v_or_b32_e32 v1, v4, v6
	s_waitcnt vmcnt(0)
	v_or_b32_e32 v1, v1, v2
	v_and_b32_e32 v1, 3, v1
	v_cmp_eq_u32_e32 vcc, 0, v1
	v_lshl_or_b32 v1, v8, 8, v9
	s_cbranch_vccnz .LBB10_14
; %bb.12:
	v_lshl_or_b32 v8, v8, 8, v9
	s_mov_b64 s[2:3], -1
	s_mov_b32 s16, s18
	s_cbranch_execz .LBB10_15
; %bb.13:
	s_and_b64 vcc, exec, s[2:3]
	s_cbranch_vccnz .LBB10_26
	s_branch .LBB10_32
.LBB10_14:
	s_mov_b64 s[2:3], 0
                                        ; implicit-def: $sgpr8
                                        ; implicit-def: $vgpr8
	s_mov_b32 s16, s18
.LBB10_15:
	s_lshr_b32 s2, s18, 2
	s_and_b32 s14, s2, 0x1fffff00
	v_cmp_gt_u32_e32 vcc, s14, v1
	s_and_saveexec_b64 s[8:9], vcc
	s_cbranch_execz .LBB10_18
; %bb.16:
	v_lshlrev_b32_e32 v12, 4, v1
	v_add_co_u32_e32 v8, vcc, v2, v12
	v_addc_co_u32_e32 v9, vcc, 0, v3, vcc
	v_add_co_u32_e32 v10, vcc, v6, v12
	v_addc_co_u32_e32 v11, vcc, 0, v7, vcc
	;; [unrolled: 2-line block ×3, first 2 shown]
	s_mov_b64 s[12:13], 0
	s_movk_i32 s15, 0x4000
	v_mov_b32_e32 v14, v1
.LBB10_17:                              ; =>This Inner Loop Header: Depth=1
	flat_load_dwordx4 v[16:19], v[12:13] glc slc
	flat_load_dwordx4 v[20:23], v[10:11] glc slc
	flat_load_dwordx4 v[24:27], v[10:11] offset:1024 glc slc
	flat_load_dwordx4 v[28:31], v[12:13] offset:1024 glc slc
	;; [unrolled: 1-line block ×6, first 2 shown]
	v_add_co_u32_e32 v10, vcc, s15, v10
	v_addc_co_u32_e32 v11, vcc, 0, v11, vcc
	v_add_co_u32_e32 v12, vcc, 0x4000, v12
	v_add_u32_e32 v14, 0x400, v14
	v_addc_co_u32_e32 v13, vcc, 0, v13, vcc
	v_cmp_le_u32_e64 s[2:3], s14, v14
	s_or_b64 s[12:13], s[2:3], s[12:13]
	s_waitcnt vmcnt(0) lgkmcnt(0)
	v_add_f32_e32 v16, v20, v16
	v_add_f32_e32 v17, v21, v17
	;; [unrolled: 1-line block ×16, first 2 shown]
	flat_store_dwordx4 v[8:9], v[16:19] glc slc
	flat_store_dwordx4 v[8:9], v[20:23] offset:1024 glc slc
	flat_store_dwordx4 v[8:9], v[24:27] offset:2048 glc slc
	flat_store_dwordx4 v[8:9], v[28:31] offset:3072 glc slc
	v_add_co_u32_e32 v8, vcc, 0x4000, v8
	v_addc_co_u32_e32 v9, vcc, 0, v9, vcc
	s_andn2_b64 exec, exec, s[12:13]
	s_cbranch_execnz .LBB10_17
.LBB10_18:
	s_or_b64 exec, exec, s[8:9]
	s_lshl_b32 s8, s14, 2
	s_cmp_eq_u32 s18, s8
	s_cbranch_scc1 .LBB10_24
; %bb.19:
	s_sub_i32 s17, s18, s8
	s_ashr_i32 s16, s17, 2
	v_cmp_gt_i32_e32 vcc, s16, v0
	s_and_saveexec_b64 s[12:13], vcc
	s_cbranch_execz .LBB10_22
; %bb.20:
	s_mov_b32 s9, 0
	s_lshl_b64 s[2:3], s[8:9], 2
	v_mov_b32_e32 v12, s3
	v_add_co_u32_e32 v8, vcc, s2, v2
	v_addc_co_u32_e32 v9, vcc, v3, v12, vcc
	v_lshlrev_b32_e32 v13, 4, v0
	v_add_co_u32_e32 v8, vcc, v8, v13
	v_addc_co_u32_e32 v9, vcc, 0, v9, vcc
	v_add_co_u32_e32 v10, vcc, s2, v6
	v_addc_co_u32_e32 v11, vcc, v7, v12, vcc
	;; [unrolled: 2-line block ×5, first 2 shown]
	s_mov_b64 s[14:15], 0
	s_movk_i32 s9, 0x1000
	v_mov_b32_e32 v14, v0
.LBB10_21:                              ; =>This Inner Loop Header: Depth=1
	flat_load_dwordx4 v[16:19], v[10:11] glc slc
	flat_load_dwordx4 v[20:23], v[12:13] glc slc
	v_add_co_u32_e32 v10, vcc, s9, v10
	v_addc_co_u32_e32 v11, vcc, 0, v11, vcc
	v_add_co_u32_e32 v12, vcc, 0x1000, v12
	v_add_u32_e32 v14, 0x100, v14
	v_addc_co_u32_e32 v13, vcc, 0, v13, vcc
	v_cmp_le_i32_e64 s[2:3], s16, v14
	s_or_b64 s[14:15], s[2:3], s[14:15]
	s_waitcnt vmcnt(0) lgkmcnt(0)
	v_add_f32_e32 v16, v16, v20
	v_add_f32_e32 v17, v17, v21
	v_add_f32_e32 v18, v18, v22
	v_add_f32_e32 v19, v19, v23
	flat_store_dwordx4 v[8:9], v[16:19] glc slc
	v_add_co_u32_e32 v8, vcc, 0x1000, v8
	v_addc_co_u32_e32 v9, vcc, 0, v9, vcc
	s_andn2_b64 exec, exec, s[14:15]
	s_cbranch_execnz .LBB10_21
.LBB10_22:
	s_or_b64 exec, exec, s[12:13]
	s_and_b32 s9, s18, 3
	s_cmp_eq_u32 s9, 0
	s_mov_b32 s16, 0
	s_cbranch_scc1 .LBB10_25
; %bb.23:
	s_and_b32 s2, s17, -4
	s_add_i32 s8, s2, s8
	s_mov_b32 s16, s9
	v_mov_b32_e32 v8, v1
	s_cbranch_execnz .LBB10_26
	s_branch .LBB10_32
.LBB10_24:
	s_mov_b32 s16, 0
	s_mov_b32 s8, 0
	v_mov_b32_e32 v8, v1
	s_branch .LBB10_32
.LBB10_25:
	v_mov_b32_e32 v8, v1
	s_branch .LBB10_32
.LBB10_26:
	s_and_b32 s17, s16, 0xffffff00
	v_cmp_gt_i32_e32 vcc, s17, v8
	s_and_saveexec_b64 s[12:13], vcc
	s_cbranch_execz .LBB10_29
; %bb.27:
	s_ashr_i32 s9, s8, 31
	s_lshl_b64 s[2:3], s[8:9], 2
	v_mov_b32_e32 v1, s3
	v_add_co_u32_e32 v10, vcc, s2, v2
	v_mov_b32_e32 v9, 0
	v_addc_co_u32_e32 v11, vcc, v3, v1, vcc
	v_lshlrev_b64 v[14:15], 2, v[8:9]
	v_add_co_u32_e32 v10, vcc, v10, v14
	v_addc_co_u32_e32 v11, vcc, v11, v15, vcc
	v_add_co_u32_e32 v9, vcc, s2, v6
	v_addc_co_u32_e32 v13, vcc, v7, v1, vcc
	;; [unrolled: 2-line block ×5, first 2 shown]
	s_mov_b64 s[14:15], 0
	s_movk_i32 s9, 0x1000
.LBB10_28:                              ; =>This Inner Loop Header: Depth=1
	flat_load_dword v1, v[12:13] glc slc
	flat_load_dword v9, v[12:13] offset:256 glc slc
	flat_load_dword v16, v[12:13] offset:512 glc slc
	;; [unrolled: 1-line block ×3, first 2 shown]
	flat_load_dword v18, v[14:15] glc slc
	flat_load_dword v19, v[14:15] offset:256 glc slc
	flat_load_dword v20, v[14:15] offset:512 glc slc
	;; [unrolled: 1-line block ×3, first 2 shown]
	v_add_co_u32_e32 v12, vcc, s9, v12
	v_addc_co_u32_e32 v13, vcc, 0, v13, vcc
	v_add_co_u32_e32 v14, vcc, 0x1000, v14
	v_add_u32_e32 v8, 0x400, v8
	v_addc_co_u32_e32 v15, vcc, 0, v15, vcc
	v_cmp_le_i32_e64 s[2:3], s17, v8
	s_or_b64 s[14:15], s[2:3], s[14:15]
	s_waitcnt vmcnt(0) lgkmcnt(0)
	v_add_f32_e32 v1, v1, v18
	v_add_f32_e32 v9, v9, v19
	;; [unrolled: 1-line block ×4, first 2 shown]
	flat_store_dword v[10:11], v1 glc slc
	flat_store_dword v[10:11], v9 offset:256 glc slc
	flat_store_dword v[10:11], v16 offset:512 glc slc
	;; [unrolled: 1-line block ×3, first 2 shown]
	v_add_co_u32_e32 v10, vcc, 0x1000, v10
	v_addc_co_u32_e32 v11, vcc, 0, v11, vcc
	s_andn2_b64 exec, exec, s[14:15]
	s_cbranch_execnz .LBB10_28
.LBB10_29:
	s_or_b64 exec, exec, s[12:13]
	s_and_b32 s2, s16, 0xff
	v_cmp_gt_u32_e32 vcc, s2, v0
	s_and_saveexec_b64 s[2:3], vcc
	s_cbranch_execz .LBB10_31
; %bb.30:
	s_add_i32 s8, s17, s8
	s_ashr_i32 s9, s8, 31
	s_lshl_b64 s[8:9], s[8:9], 2
	v_mov_b32_e32 v8, s9
	v_lshlrev_b32_e32 v9, 2, v0
	v_add_co_u32_e32 v0, vcc, s8, v6
	v_addc_co_u32_e32 v1, vcc, v7, v8, vcc
	v_add_co_u32_e32 v0, vcc, v0, v9
	v_addc_co_u32_e32 v1, vcc, 0, v1, vcc
	;; [unrolled: 2-line block ×4, first 2 shown]
	flat_load_dword v6, v[0:1] glc slc
	flat_load_dword v7, v[4:5] glc slc
	v_add_co_u32_e32 v0, vcc, s8, v2
	v_addc_co_u32_e32 v1, vcc, v3, v8, vcc
	v_add_co_u32_e32 v0, vcc, v0, v9
	v_addc_co_u32_e32 v1, vcc, 0, v1, vcc
	s_waitcnt vmcnt(0) lgkmcnt(0)
	v_add_f32_e32 v2, v6, v7
	flat_store_dword v[0:1], v2 glc slc
.LBB10_31:
	s_or_b64 exec, exec, s[2:3]
.LBB10_32:
	s_waitcnt lgkmcnt(0)
	s_barrier
	s_and_saveexec_b64 s[2:3], s[0:1]
	s_cbranch_execz .LBB10_37
; %bb.33:
	s_lshl_b64 s[0:1], s[6:7], 3
	s_memrealtime s[6:7]
	s_mov_b64 s[8:9], exec
	v_mbcnt_lo_u32_b32 v0, s8, 0
	s_add_u32 s0, s10, s0
	v_mbcnt_hi_u32_b32 v0, s9, v0
	s_addc_u32 s1, s11, s1
	v_cmp_eq_u32_e32 vcc, 0, v0
	s_and_saveexec_b64 s[2:3], vcc
	s_cbranch_execz .LBB10_35
; %bb.34:
	s_waitcnt lgkmcnt(0)
	s_sub_u32 s4, s6, s4
	s_subb_u32 s5, s7, s5
	s_bcnt1_i32_b64 s6, s[8:9]
	s_mul_i32 s5, s5, s6
	s_mul_hi_u32 s7, s4, s6
	s_add_i32 s7, s7, s5
	s_mul_i32 s4, s4, s6
	v_mov_b32_e32 v0, s4
	v_mov_b32_e32 v1, s7
	;; [unrolled: 1-line block ×3, first 2 shown]
	buffer_wbl2
	s_waitcnt vmcnt(0)
	global_atomic_add_x2 v2, v[0:1], s[0:1]
	s_waitcnt vmcnt(0)
	buffer_invl2
	buffer_wbinvl1_vol
.LBB10_35:
	s_or_b64 exec, exec, s[2:3]
	s_mov_b64 s[2:3], exec
	v_mbcnt_lo_u32_b32 v0, s2, 0
	v_mbcnt_hi_u32_b32 v0, s3, v0
	v_cmp_eq_u32_e32 vcc, 0, v0
	s_and_b64 s[4:5], exec, vcc
	s_mov_b64 exec, s[4:5]
	s_cbranch_execz .LBB10_37
; %bb.36:
	s_bcnt1_i32_b64 s2, s[2:3]
	s_mul_hi_i32 s3, s18, s2
	s_mul_i32 s2, s18, s2
	s_lshl_b64 s[2:3], s[2:3], 2
	v_mov_b32_e32 v2, 0
	v_pk_mov_b32 v[0:1], s[2:3], s[2:3] op_sel:[0,1]
	buffer_wbl2
	s_waitcnt vmcnt(0) lgkmcnt(0)
	global_atomic_add_x2 v2, v[0:1], s[0:1] offset:448
	s_waitcnt vmcnt(0)
	buffer_invl2
	buffer_wbinvl1_vol
.LBB10_37:
	s_endpgm
	.section	.rodata,"a",@progbits
	.p2align	6, 0x0
	.amdhsa_kernel _Z16flag_sync_kernelILi4ELi1EEvP15transfer_data_tP16profiling_data_tm
		.amdhsa_group_segment_fixed_size 0
		.amdhsa_private_segment_fixed_size 0
		.amdhsa_kernarg_size 24
		.amdhsa_user_sgpr_count 6
		.amdhsa_user_sgpr_private_segment_buffer 1
		.amdhsa_user_sgpr_dispatch_ptr 0
		.amdhsa_user_sgpr_queue_ptr 0
		.amdhsa_user_sgpr_kernarg_segment_ptr 1
		.amdhsa_user_sgpr_dispatch_id 0
		.amdhsa_user_sgpr_flat_scratch_init 0
		.amdhsa_user_sgpr_kernarg_preload_length 0
		.amdhsa_user_sgpr_kernarg_preload_offset 0
		.amdhsa_user_sgpr_private_segment_size 0
		.amdhsa_uses_dynamic_stack 0
		.amdhsa_system_sgpr_private_segment_wavefront_offset 0
		.amdhsa_system_sgpr_workgroup_id_x 1
		.amdhsa_system_sgpr_workgroup_id_y 0
		.amdhsa_system_sgpr_workgroup_id_z 0
		.amdhsa_system_sgpr_workgroup_info 0
		.amdhsa_system_vgpr_workitem_id 0
		.amdhsa_next_free_vgpr 48
		.amdhsa_next_free_sgpr 22
		.amdhsa_accum_offset 48
		.amdhsa_reserve_vcc 1
		.amdhsa_reserve_flat_scratch 0
		.amdhsa_float_round_mode_32 0
		.amdhsa_float_round_mode_16_64 0
		.amdhsa_float_denorm_mode_32 3
		.amdhsa_float_denorm_mode_16_64 3
		.amdhsa_dx10_clamp 1
		.amdhsa_ieee_mode 1
		.amdhsa_fp16_overflow 0
		.amdhsa_tg_split 0
		.amdhsa_exception_fp_ieee_invalid_op 0
		.amdhsa_exception_fp_denorm_src 0
		.amdhsa_exception_fp_ieee_div_zero 0
		.amdhsa_exception_fp_ieee_overflow 0
		.amdhsa_exception_fp_ieee_underflow 0
		.amdhsa_exception_fp_ieee_inexact 0
		.amdhsa_exception_int_div_zero 0
	.end_amdhsa_kernel
	.section	.text._Z16flag_sync_kernelILi4ELi1EEvP15transfer_data_tP16profiling_data_tm,"axG",@progbits,_Z16flag_sync_kernelILi4ELi1EEvP15transfer_data_tP16profiling_data_tm,comdat
.Lfunc_end10:
	.size	_Z16flag_sync_kernelILi4ELi1EEvP15transfer_data_tP16profiling_data_tm, .Lfunc_end10-_Z16flag_sync_kernelILi4ELi1EEvP15transfer_data_tP16profiling_data_tm
                                        ; -- End function
	.section	.AMDGPU.csdata,"",@progbits
; Kernel info:
; codeLenInByte = 1720
; NumSgprs: 26
; NumVgprs: 48
; NumAgprs: 0
; TotalNumVgprs: 48
; ScratchSize: 0
; MemoryBound: 0
; FloatMode: 240
; IeeeMode: 1
; LDSByteSize: 0 bytes/workgroup (compile time only)
; SGPRBlocks: 3
; VGPRBlocks: 5
; NumSGPRsForWavesPerEU: 26
; NumVGPRsForWavesPerEU: 48
; AccumOffset: 48
; Occupancy: 8
; WaveLimiterHint : 1
; COMPUTE_PGM_RSRC2:SCRATCH_EN: 0
; COMPUTE_PGM_RSRC2:USER_SGPR: 6
; COMPUTE_PGM_RSRC2:TRAP_HANDLER: 0
; COMPUTE_PGM_RSRC2:TGID_X_EN: 1
; COMPUTE_PGM_RSRC2:TGID_Y_EN: 0
; COMPUTE_PGM_RSRC2:TGID_Z_EN: 0
; COMPUTE_PGM_RSRC2:TIDIG_COMP_CNT: 0
; COMPUTE_PGM_RSRC3_GFX90A:ACCUM_OFFSET: 11
; COMPUTE_PGM_RSRC3_GFX90A:TG_SPLIT: 0
	.section	.text._Z16flag_sync_kernelILi5ELi0EEvP15transfer_data_tP16profiling_data_tm,"axG",@progbits,_Z16flag_sync_kernelILi5ELi0EEvP15transfer_data_tP16profiling_data_tm,comdat
	.protected	_Z16flag_sync_kernelILi5ELi0EEvP15transfer_data_tP16profiling_data_tm ; -- Begin function _Z16flag_sync_kernelILi5ELi0EEvP15transfer_data_tP16profiling_data_tm
	.globl	_Z16flag_sync_kernelILi5ELi0EEvP15transfer_data_tP16profiling_data_tm
	.p2align	8
	.type	_Z16flag_sync_kernelILi5ELi0EEvP15transfer_data_tP16profiling_data_tm,@function
_Z16flag_sync_kernelILi5ELi0EEvP15transfer_data_tP16profiling_data_tm: ; @_Z16flag_sync_kernelILi5ELi0EEvP15transfer_data_tP16profiling_data_tm
; %bb.0:
	s_load_dwordx4 s[8:11], s[4:5], 0x0
	v_cmp_eq_u32_e64 s[0:1], 0, v0
	s_waitcnt lgkmcnt(0)
	s_load_dword s16, s[8:9], 0x8c0
	s_and_saveexec_b64 s[2:3], s[0:1]
	s_cbranch_execz .LBB11_3
; %bb.1:
	s_mov_b64 s[4:5], exec
	v_mbcnt_lo_u32_b32 v1, s4, 0
	v_mbcnt_hi_u32_b32 v1, s5, v1
	v_cmp_eq_u32_e32 vcc, 0, v1
	s_and_b64 s[12:13], exec, vcc
	s_mov_b64 exec, s[12:13]
	s_cbranch_execz .LBB11_3
; %bb.2:
	s_load_dword s12, s[8:9], 0x8c4
	s_load_dwordx2 s[14:15], s[8:9], 0x8d0
	v_mov_b32_e32 v3, 0
	s_waitcnt lgkmcnt(0)
	s_ashr_i32 s13, s12, 31
	s_lshl_b64 s[12:13], s[12:13], 3
	s_add_u32 s12, s14, s12
	s_addc_u32 s13, s15, s13
	s_bcnt1_i32_b64 s4, s[4:5]
	v_mov_b32_e32 v2, s4
	buffer_wbl2
	global_atomic_add_x2 v3, v[2:3], s[12:13]
	s_waitcnt vmcnt(0)
	buffer_invl2
	buffer_wbinvl1_vol
.LBB11_3:
	s_or_b64 exec, exec, s[2:3]
	s_waitcnt lgkmcnt(0)
	s_barrier
	s_waitcnt lgkmcnt(0)
                                        ; implicit-def: $sgpr4_sgpr5
	s_and_saveexec_b64 s[2:3], s[0:1]
	s_cbranch_execz .LBB11_5
; %bb.4:
	s_memrealtime s[4:5]
.LBB11_5:
	s_or_b64 exec, exec, s[2:3]
	s_ashr_i32 s7, s6, 31
	s_cmp_lt_i32 s16, 1
	s_cbranch_scc1 .LBB11_27
; %bb.6:
	s_lshl_b64 s[2:3], s[6:7], 3
	s_add_u32 s2, s8, s2
	s_addc_u32 s3, s9, s3
	v_mov_b32_e32 v1, 0
	global_load_dwordx2 v[6:7], v1, s[2:3] offset:1792
	global_load_dwordx2 v[2:3], v1, s[2:3] offset:896
	;; [unrolled: 1-line block ×3, first 2 shown]
	global_load_dwordx2 v[4:5], v1, s[2:3]
	v_lshrrev_b32_e32 v10, 6, v0
	v_and_b32_e32 v11, 63, v0
	s_mov_b32 s8, 0
	s_waitcnt vmcnt(1)
	v_or_b32_e32 v1, v6, v8
	s_waitcnt vmcnt(0)
	v_or_b32_e32 v1, v1, v4
	v_or_b32_e32 v1, v1, v2
	v_and_b32_e32 v1, 3, v1
	v_cmp_eq_u32_e32 vcc, 0, v1
	v_lshl_or_b32 v1, v10, 8, v11
	s_cbranch_vccnz .LBB11_9
; %bb.7:
	v_lshl_or_b32 v10, v10, 8, v11
	s_mov_b64 s[2:3], -1
	s_mov_b32 s17, s16
	s_cbranch_execz .LBB11_10
; %bb.8:
	s_and_b64 vcc, exec, s[2:3]
	s_cbranch_vccnz .LBB11_21
	s_branch .LBB11_27
.LBB11_9:
	s_mov_b64 s[2:3], 0
                                        ; implicit-def: $sgpr17
                                        ; implicit-def: $sgpr8
                                        ; implicit-def: $vgpr10
.LBB11_10:
	s_lshr_b32 s2, s16, 2
	s_and_b32 s14, s2, 0x1fffff00
	v_cmp_gt_u32_e32 vcc, s14, v1
	s_and_saveexec_b64 s[8:9], vcc
	s_cbranch_execz .LBB11_13
; %bb.11:
	v_lshlrev_b32_e32 v16, 4, v1
	v_add_co_u32_e32 v10, vcc, v8, v16
	v_addc_co_u32_e32 v11, vcc, 0, v9, vcc
	v_add_co_u32_e32 v12, vcc, v6, v16
	v_addc_co_u32_e32 v13, vcc, 0, v7, vcc
	;; [unrolled: 2-line block ×4, first 2 shown]
	s_mov_b64 s[12:13], 0
	s_movk_i32 s15, 0x4000
	v_mov_b32_e32 v18, v1
.LBB11_12:                              ; =>This Inner Loop Header: Depth=1
	flat_load_dwordx4 v[20:23], v[12:13] glc slc
	flat_load_dwordx4 v[24:27], v[10:11] glc slc
	flat_load_dwordx4 v[28:31], v[10:11] offset:1024 glc slc
	flat_load_dwordx4 v[32:35], v[12:13] offset:1024 glc slc
	;; [unrolled: 1-line block ×6, first 2 shown]
	v_add_co_u32_e32 v10, vcc, s15, v10
	v_addc_co_u32_e32 v11, vcc, 0, v11, vcc
	v_add_co_u32_e32 v12, vcc, s15, v12
	v_addc_co_u32_e32 v13, vcc, 0, v13, vcc
	v_add_u32_e32 v18, 0x400, v18
	v_cmp_le_u32_e64 s[2:3], s14, v18
	s_or_b64 s[12:13], s[2:3], s[12:13]
	s_waitcnt vmcnt(0) lgkmcnt(0)
	v_add_f32_e32 v20, v24, v20
	v_add_f32_e32 v21, v25, v21
	;; [unrolled: 1-line block ×16, first 2 shown]
	flat_store_dwordx4 v[14:15], v[20:23] glc slc
	flat_store_dwordx4 v[14:15], v[24:27] offset:1024 glc slc
	flat_store_dwordx4 v[14:15], v[28:31] offset:2048 glc slc
	;; [unrolled: 1-line block ×3, first 2 shown]
	flat_store_dwordx4 v[16:17], v[20:23] glc slc
	flat_store_dwordx4 v[16:17], v[24:27] offset:1024 glc slc
	flat_store_dwordx4 v[16:17], v[28:31] offset:2048 glc slc
	;; [unrolled: 1-line block ×3, first 2 shown]
	v_add_co_u32_e32 v14, vcc, 0x4000, v14
	v_addc_co_u32_e32 v15, vcc, 0, v15, vcc
	v_add_co_u32_e32 v16, vcc, 0x4000, v16
	v_addc_co_u32_e32 v17, vcc, 0, v17, vcc
	s_andn2_b64 exec, exec, s[12:13]
	s_cbranch_execnz .LBB11_12
.LBB11_13:
	s_or_b64 exec, exec, s[8:9]
	s_lshl_b32 s8, s14, 2
	s_cmp_eq_u32 s16, s8
	s_cbranch_scc1 .LBB11_19
; %bb.14:
	s_sub_i32 s18, s16, s8
	s_ashr_i32 s17, s18, 2
	v_cmp_gt_i32_e32 vcc, s17, v0
	s_and_saveexec_b64 s[12:13], vcc
	s_cbranch_execz .LBB11_17
; %bb.15:
	s_mov_b32 s9, 0
	s_lshl_b64 s[2:3], s[8:9], 2
	v_mov_b32_e32 v16, s3
	v_add_co_u32_e32 v10, vcc, s2, v8
	v_addc_co_u32_e32 v11, vcc, v9, v16, vcc
	v_lshlrev_b32_e32 v17, 4, v0
	v_add_co_u32_e32 v10, vcc, v10, v17
	v_addc_co_u32_e32 v11, vcc, 0, v11, vcc
	v_add_co_u32_e32 v12, vcc, s2, v6
	v_addc_co_u32_e32 v13, vcc, v7, v16, vcc
	;; [unrolled: 2-line block ×7, first 2 shown]
	s_mov_b64 s[14:15], 0
	s_movk_i32 s9, 0x1000
	v_mov_b32_e32 v18, v0
.LBB11_16:                              ; =>This Inner Loop Header: Depth=1
	flat_load_dwordx4 v[20:23], v[10:11] glc slc
	flat_load_dwordx4 v[24:27], v[12:13] glc slc
	v_add_co_u32_e32 v10, vcc, s9, v10
	v_addc_co_u32_e32 v11, vcc, 0, v11, vcc
	v_add_co_u32_e32 v12, vcc, s9, v12
	v_addc_co_u32_e32 v13, vcc, 0, v13, vcc
	v_add_u32_e32 v18, 0x100, v18
	v_cmp_le_i32_e64 s[2:3], s17, v18
	s_or_b64 s[14:15], s[2:3], s[14:15]
	s_waitcnt vmcnt(0) lgkmcnt(0)
	v_add_f32_e32 v20, v20, v24
	v_add_f32_e32 v21, v21, v25
	;; [unrolled: 1-line block ×4, first 2 shown]
	flat_store_dwordx4 v[14:15], v[20:23] glc slc
	flat_store_dwordx4 v[16:17], v[20:23] glc slc
	v_add_co_u32_e32 v14, vcc, 0x1000, v14
	v_addc_co_u32_e32 v15, vcc, 0, v15, vcc
	v_add_co_u32_e32 v16, vcc, 0x1000, v16
	v_addc_co_u32_e32 v17, vcc, 0, v17, vcc
	s_andn2_b64 exec, exec, s[14:15]
	s_cbranch_execnz .LBB11_16
.LBB11_17:
	s_or_b64 exec, exec, s[12:13]
	s_and_b32 s9, s16, 3
	s_cmp_eq_u32 s9, 0
	s_mov_b32 s17, 0
	s_cbranch_scc1 .LBB11_20
; %bb.18:
	s_and_b32 s2, s18, -4
	s_add_i32 s8, s2, s8
	s_mov_b32 s17, s9
	v_mov_b32_e32 v10, v1
	s_cbranch_execnz .LBB11_21
	s_branch .LBB11_27
.LBB11_19:
	s_mov_b32 s17, 0
	s_mov_b32 s8, 0
	v_mov_b32_e32 v10, v1
	s_branch .LBB11_27
.LBB11_20:
	v_mov_b32_e32 v10, v1
	s_branch .LBB11_27
.LBB11_21:
	s_and_b32 s18, s17, 0xffffff00
	v_cmp_gt_i32_e32 vcc, s18, v10
	s_and_saveexec_b64 s[12:13], vcc
	s_cbranch_execz .LBB11_24
; %bb.22:
	s_ashr_i32 s9, s8, 31
	s_lshl_b64 s[2:3], s[8:9], 2
	v_mov_b32_e32 v1, s3
	v_add_co_u32_e32 v12, vcc, s2, v8
	v_mov_b32_e32 v11, 0
	v_addc_co_u32_e32 v13, vcc, v9, v1, vcc
	v_lshlrev_b64 v[18:19], 2, v[10:11]
	v_add_co_u32_e32 v12, vcc, v12, v18
	v_addc_co_u32_e32 v13, vcc, v13, v19, vcc
	v_add_co_u32_e32 v11, vcc, s2, v6
	v_addc_co_u32_e32 v15, vcc, v7, v1, vcc
	;; [unrolled: 2-line block ×7, first 2 shown]
	s_mov_b64 s[14:15], 0
	s_movk_i32 s9, 0x1000
.LBB11_23:                              ; =>This Inner Loop Header: Depth=1
	flat_load_dword v1, v[12:13] glc slc
	flat_load_dword v11, v[12:13] offset:256 glc slc
	flat_load_dword v20, v[12:13] offset:512 glc slc
	;; [unrolled: 1-line block ×3, first 2 shown]
	flat_load_dword v22, v[14:15] glc slc
	flat_load_dword v23, v[14:15] offset:256 glc slc
	flat_load_dword v24, v[14:15] offset:512 glc slc
	;; [unrolled: 1-line block ×3, first 2 shown]
	v_add_co_u32_e32 v12, vcc, s9, v12
	v_addc_co_u32_e32 v13, vcc, 0, v13, vcc
	v_add_co_u32_e32 v14, vcc, s9, v14
	v_addc_co_u32_e32 v15, vcc, 0, v15, vcc
	v_add_u32_e32 v10, 0x400, v10
	v_cmp_le_i32_e64 s[2:3], s18, v10
	s_or_b64 s[14:15], s[2:3], s[14:15]
	s_waitcnt vmcnt(0) lgkmcnt(0)
	v_add_f32_e32 v1, v1, v22
	v_add_f32_e32 v11, v11, v23
	;; [unrolled: 1-line block ×4, first 2 shown]
	flat_store_dword v[16:17], v1 glc slc
	flat_store_dword v[16:17], v11 offset:256 glc slc
	flat_store_dword v[16:17], v20 offset:512 glc slc
	;; [unrolled: 1-line block ×3, first 2 shown]
	flat_store_dword v[18:19], v1 glc slc
	flat_store_dword v[18:19], v11 offset:256 glc slc
	flat_store_dword v[18:19], v20 offset:512 glc slc
	;; [unrolled: 1-line block ×3, first 2 shown]
	v_add_co_u32_e32 v16, vcc, 0x1000, v16
	v_addc_co_u32_e32 v17, vcc, 0, v17, vcc
	v_add_co_u32_e32 v18, vcc, 0x1000, v18
	v_addc_co_u32_e32 v19, vcc, 0, v19, vcc
	s_andn2_b64 exec, exec, s[14:15]
	s_cbranch_execnz .LBB11_23
.LBB11_24:
	s_or_b64 exec, exec, s[12:13]
	s_and_b32 s2, s17, 0xff
	v_cmp_gt_u32_e32 vcc, s2, v0
	s_and_saveexec_b64 s[2:3], vcc
	s_cbranch_execz .LBB11_26
; %bb.25:
	s_add_i32 s8, s18, s8
	s_ashr_i32 s9, s8, 31
	s_lshl_b64 s[8:9], s[8:9], 2
	v_mov_b32_e32 v10, s9
	v_add_co_u32_e32 v1, vcc, s8, v8
	v_addc_co_u32_e32 v8, vcc, v9, v10, vcc
	v_lshlrev_b32_e32 v9, 2, v0
	v_add_co_u32_e32 v0, vcc, v1, v9
	v_addc_co_u32_e32 v1, vcc, 0, v8, vcc
	v_add_co_u32_e32 v6, vcc, s8, v6
	v_addc_co_u32_e32 v7, vcc, v7, v10, vcc
	;; [unrolled: 2-line block ×3, first 2 shown]
	flat_load_dword v8, v[0:1] glc slc
	flat_load_dword v11, v[6:7] glc slc
	v_add_co_u32_e32 v0, vcc, s8, v4
	v_addc_co_u32_e32 v1, vcc, v5, v10, vcc
	v_add_co_u32_e32 v2, vcc, s8, v2
	v_addc_co_u32_e32 v3, vcc, v3, v10, vcc
	;; [unrolled: 2-line block ×4, first 2 shown]
	s_waitcnt vmcnt(0) lgkmcnt(0)
	v_add_f32_e32 v4, v8, v11
	flat_store_dword v[0:1], v4 glc slc
	flat_store_dword v[2:3], v4 glc slc
.LBB11_26:
	s_or_b64 exec, exec, s[2:3]
.LBB11_27:
	s_waitcnt lgkmcnt(0)
	s_barrier
	s_and_saveexec_b64 s[2:3], s[0:1]
	s_cbranch_execz .LBB11_32
; %bb.28:
	s_lshl_b64 s[0:1], s[6:7], 3
	s_memrealtime s[6:7]
	s_mov_b64 s[8:9], exec
	v_mbcnt_lo_u32_b32 v0, s8, 0
	s_add_u32 s0, s10, s0
	v_mbcnt_hi_u32_b32 v0, s9, v0
	s_addc_u32 s1, s11, s1
	v_cmp_eq_u32_e32 vcc, 0, v0
	s_and_saveexec_b64 s[2:3], vcc
	s_cbranch_execz .LBB11_30
; %bb.29:
	s_waitcnt lgkmcnt(0)
	s_sub_u32 s4, s6, s4
	s_subb_u32 s5, s7, s5
	s_bcnt1_i32_b64 s6, s[8:9]
	s_mul_i32 s5, s5, s6
	s_mul_hi_u32 s7, s4, s6
	s_add_i32 s7, s7, s5
	s_mul_i32 s4, s4, s6
	v_mov_b32_e32 v0, s4
	v_mov_b32_e32 v1, s7
	;; [unrolled: 1-line block ×3, first 2 shown]
	buffer_wbl2
	s_waitcnt vmcnt(0)
	global_atomic_add_x2 v2, v[0:1], s[0:1]
	s_waitcnt vmcnt(0)
	buffer_invl2
	buffer_wbinvl1_vol
.LBB11_30:
	s_or_b64 exec, exec, s[2:3]
	s_mov_b64 s[2:3], exec
	v_mbcnt_lo_u32_b32 v0, s2, 0
	v_mbcnt_hi_u32_b32 v0, s3, v0
	v_cmp_eq_u32_e32 vcc, 0, v0
	s_and_b64 s[4:5], exec, vcc
	s_mov_b64 exec, s[4:5]
	s_cbranch_execz .LBB11_32
; %bb.31:
	s_bcnt1_i32_b64 s2, s[2:3]
	s_mul_hi_i32 s3, s16, s2
	s_mul_i32 s2, s16, s2
	s_lshl_b64 s[2:3], s[2:3], 2
	v_mov_b32_e32 v2, 0
	v_pk_mov_b32 v[0:1], s[2:3], s[2:3] op_sel:[0,1]
	buffer_wbl2
	s_waitcnt vmcnt(0) lgkmcnt(0)
	global_atomic_add_x2 v2, v[0:1], s[0:1] offset:448
	s_waitcnt vmcnt(0)
	buffer_invl2
	buffer_wbinvl1_vol
.LBB11_32:
	s_endpgm
	.section	.rodata,"a",@progbits
	.p2align	6, 0x0
	.amdhsa_kernel _Z16flag_sync_kernelILi5ELi0EEvP15transfer_data_tP16profiling_data_tm
		.amdhsa_group_segment_fixed_size 0
		.amdhsa_private_segment_fixed_size 0
		.amdhsa_kernarg_size 24
		.amdhsa_user_sgpr_count 6
		.amdhsa_user_sgpr_private_segment_buffer 1
		.amdhsa_user_sgpr_dispatch_ptr 0
		.amdhsa_user_sgpr_queue_ptr 0
		.amdhsa_user_sgpr_kernarg_segment_ptr 1
		.amdhsa_user_sgpr_dispatch_id 0
		.amdhsa_user_sgpr_flat_scratch_init 0
		.amdhsa_user_sgpr_kernarg_preload_length 0
		.amdhsa_user_sgpr_kernarg_preload_offset 0
		.amdhsa_user_sgpr_private_segment_size 0
		.amdhsa_uses_dynamic_stack 0
		.amdhsa_system_sgpr_private_segment_wavefront_offset 0
		.amdhsa_system_sgpr_workgroup_id_x 1
		.amdhsa_system_sgpr_workgroup_id_y 0
		.amdhsa_system_sgpr_workgroup_id_z 0
		.amdhsa_system_sgpr_workgroup_info 0
		.amdhsa_system_vgpr_workitem_id 0
		.amdhsa_next_free_vgpr 52
		.amdhsa_next_free_sgpr 19
		.amdhsa_accum_offset 52
		.amdhsa_reserve_vcc 1
		.amdhsa_reserve_flat_scratch 0
		.amdhsa_float_round_mode_32 0
		.amdhsa_float_round_mode_16_64 0
		.amdhsa_float_denorm_mode_32 3
		.amdhsa_float_denorm_mode_16_64 3
		.amdhsa_dx10_clamp 1
		.amdhsa_ieee_mode 1
		.amdhsa_fp16_overflow 0
		.amdhsa_tg_split 0
		.amdhsa_exception_fp_ieee_invalid_op 0
		.amdhsa_exception_fp_denorm_src 0
		.amdhsa_exception_fp_ieee_div_zero 0
		.amdhsa_exception_fp_ieee_overflow 0
		.amdhsa_exception_fp_ieee_underflow 0
		.amdhsa_exception_fp_ieee_inexact 0
		.amdhsa_exception_int_div_zero 0
	.end_amdhsa_kernel
	.section	.text._Z16flag_sync_kernelILi5ELi0EEvP15transfer_data_tP16profiling_data_tm,"axG",@progbits,_Z16flag_sync_kernelILi5ELi0EEvP15transfer_data_tP16profiling_data_tm,comdat
.Lfunc_end11:
	.size	_Z16flag_sync_kernelILi5ELi0EEvP15transfer_data_tP16profiling_data_tm, .Lfunc_end11-_Z16flag_sync_kernelILi5ELi0EEvP15transfer_data_tP16profiling_data_tm
                                        ; -- End function
	.section	.AMDGPU.csdata,"",@progbits
; Kernel info:
; codeLenInByte = 1740
; NumSgprs: 23
; NumVgprs: 52
; NumAgprs: 0
; TotalNumVgprs: 52
; ScratchSize: 0
; MemoryBound: 0
; FloatMode: 240
; IeeeMode: 1
; LDSByteSize: 0 bytes/workgroup (compile time only)
; SGPRBlocks: 2
; VGPRBlocks: 6
; NumSGPRsForWavesPerEU: 23
; NumVGPRsForWavesPerEU: 52
; AccumOffset: 52
; Occupancy: 8
; WaveLimiterHint : 1
; COMPUTE_PGM_RSRC2:SCRATCH_EN: 0
; COMPUTE_PGM_RSRC2:USER_SGPR: 6
; COMPUTE_PGM_RSRC2:TRAP_HANDLER: 0
; COMPUTE_PGM_RSRC2:TGID_X_EN: 1
; COMPUTE_PGM_RSRC2:TGID_Y_EN: 0
; COMPUTE_PGM_RSRC2:TGID_Z_EN: 0
; COMPUTE_PGM_RSRC2:TIDIG_COMP_CNT: 0
; COMPUTE_PGM_RSRC3_GFX90A:ACCUM_OFFSET: 12
; COMPUTE_PGM_RSRC3_GFX90A:TG_SPLIT: 0
	.section	.text._Z16flag_sync_kernelILi5ELi1EEvP15transfer_data_tP16profiling_data_tm,"axG",@progbits,_Z16flag_sync_kernelILi5ELi1EEvP15transfer_data_tP16profiling_data_tm,comdat
	.protected	_Z16flag_sync_kernelILi5ELi1EEvP15transfer_data_tP16profiling_data_tm ; -- Begin function _Z16flag_sync_kernelILi5ELi1EEvP15transfer_data_tP16profiling_data_tm
	.globl	_Z16flag_sync_kernelILi5ELi1EEvP15transfer_data_tP16profiling_data_tm
	.p2align	8
	.type	_Z16flag_sync_kernelILi5ELi1EEvP15transfer_data_tP16profiling_data_tm,@function
_Z16flag_sync_kernelILi5ELi1EEvP15transfer_data_tP16profiling_data_tm: ; @_Z16flag_sync_kernelILi5ELi1EEvP15transfer_data_tP16profiling_data_tm
; %bb.0:
	s_load_dwordx4 s[8:11], s[4:5], 0x0
	s_load_dwordx2 s[2:3], s[4:5], 0x10
	v_cmp_eq_u32_e64 s[0:1], 0, v0
	s_waitcnt lgkmcnt(0)
	s_load_dword s18, s[8:9], 0x8c0
	s_and_saveexec_b64 s[4:5], s[0:1]
	s_cbranch_execz .LBB12_8
; %bb.1:
	s_mov_b64 s[14:15], exec
	v_mbcnt_lo_u32_b32 v1, s14, 0
	v_mbcnt_hi_u32_b32 v1, s15, v1
	v_cmp_eq_u32_e32 vcc, 0, v1
	s_and_saveexec_b64 s[12:13], vcc
	s_cbranch_execz .LBB12_3
; %bb.2:
	s_load_dword s16, s[8:9], 0x8c4
	s_load_dwordx2 s[20:21], s[8:9], 0x8d0
	v_mov_b32_e32 v3, 0
	s_waitcnt lgkmcnt(0)
	s_ashr_i32 s17, s16, 31
	s_lshl_b64 s[16:17], s[16:17], 3
	s_add_u32 s16, s20, s16
	s_addc_u32 s17, s21, s17
	s_bcnt1_i32_b64 s7, s[14:15]
	v_mov_b32_e32 v2, s7
	buffer_wbl2
	global_atomic_add_x2 v3, v[2:3], s[16:17]
	s_waitcnt vmcnt(0)
	buffer_invl2
	buffer_wbinvl1_vol
.LBB12_3:
	s_or_b64 exec, exec, s[12:13]
	v_mov_b32_e32 v1, 0
	global_load_dword v2, v1, s[8:9] offset:2248
	s_waitcnt vmcnt(0)
	v_cmp_gt_i32_e32 vcc, 1, v2
	s_cbranch_vccnz .LBB12_8
; %bb.4:
	s_mov_b32 s13, 0
	s_mov_b32 s12, s13
.LBB12_5:                               ; =>This Loop Header: Depth=1
                                        ;     Child Loop BB12_6 Depth 2
	s_lshl_b64 s[16:17], s[12:13], 3
	s_mov_b64 s[14:15], 0
	v_mov_b32_e32 v2, s17
.LBB12_6:                               ;   Parent Loop BB12_5 Depth=1
                                        ; =>  This Inner Loop Header: Depth=2
	global_load_dwordx2 v[4:5], v1, s[8:9] offset:2256
	s_waitcnt vmcnt(0)
	v_add_co_u32_e32 v4, vcc, s16, v4
	v_addc_co_u32_e32 v5, vcc, v5, v2, vcc
	s_waitcnt lgkmcnt(0)
	flat_load_dwordx2 v[4:5], v[4:5] glc
	s_waitcnt vmcnt(0) lgkmcnt(0)
	buffer_invl2
	buffer_wbinvl1_vol
	v_cmp_le_u64_e32 vcc, s[2:3], v[4:5]
	s_or_b64 s[14:15], vcc, s[14:15]
	s_andn2_b64 exec, exec, s[14:15]
	s_cbranch_execnz .LBB12_6
; %bb.7:                                ;   in Loop: Header=BB12_5 Depth=1
	s_or_b64 exec, exec, s[14:15]
	global_load_dword v2, v1, s[8:9] offset:2248
	s_add_i32 s12, s12, 1
	s_waitcnt vmcnt(0)
	v_cmp_lt_i32_e32 vcc, s12, v2
	s_cbranch_vccnz .LBB12_5
.LBB12_8:
	s_or_b64 exec, exec, s[4:5]
	s_waitcnt lgkmcnt(0)
	s_barrier
	s_waitcnt lgkmcnt(0)
                                        ; implicit-def: $sgpr4_sgpr5
	s_and_saveexec_b64 s[2:3], s[0:1]
	s_cbranch_execz .LBB12_10
; %bb.9:
	s_memrealtime s[4:5]
.LBB12_10:
	s_or_b64 exec, exec, s[2:3]
	s_ashr_i32 s7, s6, 31
	s_cmp_lt_i32 s18, 1
	s_cbranch_scc1 .LBB12_32
; %bb.11:
	s_lshl_b64 s[2:3], s[6:7], 3
	s_add_u32 s2, s8, s2
	s_addc_u32 s3, s9, s3
	v_mov_b32_e32 v1, 0
	global_load_dwordx2 v[6:7], v1, s[2:3] offset:1792
	global_load_dwordx2 v[2:3], v1, s[2:3] offset:896
	;; [unrolled: 1-line block ×3, first 2 shown]
	global_load_dwordx2 v[4:5], v1, s[2:3]
	v_lshrrev_b32_e32 v10, 6, v0
	v_and_b32_e32 v11, 63, v0
	s_mov_b32 s8, 0
	s_waitcnt vmcnt(1)
	v_or_b32_e32 v1, v6, v8
	s_waitcnt vmcnt(0)
	v_or_b32_e32 v1, v1, v4
	v_or_b32_e32 v1, v1, v2
	v_and_b32_e32 v1, 3, v1
	v_cmp_eq_u32_e32 vcc, 0, v1
	v_lshl_or_b32 v1, v10, 8, v11
	s_cbranch_vccnz .LBB12_14
; %bb.12:
	v_lshl_or_b32 v10, v10, 8, v11
	s_mov_b64 s[2:3], -1
	s_mov_b32 s16, s18
	s_cbranch_execz .LBB12_15
; %bb.13:
	s_and_b64 vcc, exec, s[2:3]
	s_cbranch_vccnz .LBB12_26
	s_branch .LBB12_32
.LBB12_14:
	s_mov_b64 s[2:3], 0
                                        ; implicit-def: $sgpr8
                                        ; implicit-def: $vgpr10
	s_mov_b32 s16, s18
.LBB12_15:
	s_lshr_b32 s2, s18, 2
	s_and_b32 s14, s2, 0x1fffff00
	v_cmp_gt_u32_e32 vcc, s14, v1
	s_and_saveexec_b64 s[8:9], vcc
	s_cbranch_execz .LBB12_18
; %bb.16:
	v_lshlrev_b32_e32 v16, 4, v1
	v_add_co_u32_e32 v10, vcc, v8, v16
	v_addc_co_u32_e32 v11, vcc, 0, v9, vcc
	v_add_co_u32_e32 v12, vcc, v6, v16
	v_addc_co_u32_e32 v13, vcc, 0, v7, vcc
	;; [unrolled: 2-line block ×4, first 2 shown]
	s_mov_b64 s[12:13], 0
	s_movk_i32 s15, 0x4000
	v_mov_b32_e32 v18, v1
.LBB12_17:                              ; =>This Inner Loop Header: Depth=1
	flat_load_dwordx4 v[20:23], v[12:13] glc slc
	flat_load_dwordx4 v[24:27], v[10:11] glc slc
	flat_load_dwordx4 v[28:31], v[10:11] offset:1024 glc slc
	flat_load_dwordx4 v[32:35], v[12:13] offset:1024 glc slc
	;; [unrolled: 1-line block ×6, first 2 shown]
	v_add_co_u32_e32 v10, vcc, s15, v10
	v_addc_co_u32_e32 v11, vcc, 0, v11, vcc
	v_add_co_u32_e32 v12, vcc, s15, v12
	v_addc_co_u32_e32 v13, vcc, 0, v13, vcc
	v_add_u32_e32 v18, 0x400, v18
	v_cmp_le_u32_e64 s[2:3], s14, v18
	s_or_b64 s[12:13], s[2:3], s[12:13]
	s_waitcnt vmcnt(0) lgkmcnt(0)
	v_add_f32_e32 v20, v24, v20
	v_add_f32_e32 v21, v25, v21
	;; [unrolled: 1-line block ×16, first 2 shown]
	flat_store_dwordx4 v[14:15], v[20:23] glc slc
	flat_store_dwordx4 v[14:15], v[24:27] offset:1024 glc slc
	flat_store_dwordx4 v[14:15], v[28:31] offset:2048 glc slc
	;; [unrolled: 1-line block ×3, first 2 shown]
	flat_store_dwordx4 v[16:17], v[20:23] glc slc
	flat_store_dwordx4 v[16:17], v[24:27] offset:1024 glc slc
	flat_store_dwordx4 v[16:17], v[28:31] offset:2048 glc slc
	;; [unrolled: 1-line block ×3, first 2 shown]
	v_add_co_u32_e32 v14, vcc, 0x4000, v14
	v_addc_co_u32_e32 v15, vcc, 0, v15, vcc
	v_add_co_u32_e32 v16, vcc, 0x4000, v16
	v_addc_co_u32_e32 v17, vcc, 0, v17, vcc
	s_andn2_b64 exec, exec, s[12:13]
	s_cbranch_execnz .LBB12_17
.LBB12_18:
	s_or_b64 exec, exec, s[8:9]
	s_lshl_b32 s8, s14, 2
	s_cmp_eq_u32 s18, s8
	s_cbranch_scc1 .LBB12_24
; %bb.19:
	s_sub_i32 s17, s18, s8
	s_ashr_i32 s16, s17, 2
	v_cmp_gt_i32_e32 vcc, s16, v0
	s_and_saveexec_b64 s[12:13], vcc
	s_cbranch_execz .LBB12_22
; %bb.20:
	s_mov_b32 s9, 0
	s_lshl_b64 s[2:3], s[8:9], 2
	v_mov_b32_e32 v16, s3
	v_add_co_u32_e32 v10, vcc, s2, v8
	v_addc_co_u32_e32 v11, vcc, v9, v16, vcc
	v_lshlrev_b32_e32 v17, 4, v0
	v_add_co_u32_e32 v10, vcc, v10, v17
	v_addc_co_u32_e32 v11, vcc, 0, v11, vcc
	v_add_co_u32_e32 v12, vcc, s2, v6
	v_addc_co_u32_e32 v13, vcc, v7, v16, vcc
	;; [unrolled: 2-line block ×7, first 2 shown]
	s_mov_b64 s[14:15], 0
	s_movk_i32 s9, 0x1000
	v_mov_b32_e32 v18, v0
.LBB12_21:                              ; =>This Inner Loop Header: Depth=1
	flat_load_dwordx4 v[20:23], v[10:11] glc slc
	flat_load_dwordx4 v[24:27], v[12:13] glc slc
	v_add_co_u32_e32 v10, vcc, s9, v10
	v_addc_co_u32_e32 v11, vcc, 0, v11, vcc
	v_add_co_u32_e32 v12, vcc, s9, v12
	v_addc_co_u32_e32 v13, vcc, 0, v13, vcc
	v_add_u32_e32 v18, 0x100, v18
	v_cmp_le_i32_e64 s[2:3], s16, v18
	s_or_b64 s[14:15], s[2:3], s[14:15]
	s_waitcnt vmcnt(0) lgkmcnt(0)
	v_add_f32_e32 v20, v20, v24
	v_add_f32_e32 v21, v21, v25
	;; [unrolled: 1-line block ×4, first 2 shown]
	flat_store_dwordx4 v[14:15], v[20:23] glc slc
	flat_store_dwordx4 v[16:17], v[20:23] glc slc
	v_add_co_u32_e32 v14, vcc, 0x1000, v14
	v_addc_co_u32_e32 v15, vcc, 0, v15, vcc
	v_add_co_u32_e32 v16, vcc, 0x1000, v16
	v_addc_co_u32_e32 v17, vcc, 0, v17, vcc
	s_andn2_b64 exec, exec, s[14:15]
	s_cbranch_execnz .LBB12_21
.LBB12_22:
	s_or_b64 exec, exec, s[12:13]
	s_and_b32 s9, s18, 3
	s_cmp_eq_u32 s9, 0
	s_mov_b32 s16, 0
	s_cbranch_scc1 .LBB12_25
; %bb.23:
	s_and_b32 s2, s17, -4
	s_add_i32 s8, s2, s8
	s_mov_b32 s16, s9
	v_mov_b32_e32 v10, v1
	s_cbranch_execnz .LBB12_26
	s_branch .LBB12_32
.LBB12_24:
	s_mov_b32 s16, 0
	s_mov_b32 s8, 0
	v_mov_b32_e32 v10, v1
	s_branch .LBB12_32
.LBB12_25:
	v_mov_b32_e32 v10, v1
	s_branch .LBB12_32
.LBB12_26:
	s_and_b32 s17, s16, 0xffffff00
	v_cmp_gt_i32_e32 vcc, s17, v10
	s_and_saveexec_b64 s[12:13], vcc
	s_cbranch_execz .LBB12_29
; %bb.27:
	s_ashr_i32 s9, s8, 31
	s_lshl_b64 s[2:3], s[8:9], 2
	v_mov_b32_e32 v1, s3
	v_add_co_u32_e32 v12, vcc, s2, v8
	v_mov_b32_e32 v11, 0
	v_addc_co_u32_e32 v13, vcc, v9, v1, vcc
	v_lshlrev_b64 v[18:19], 2, v[10:11]
	v_add_co_u32_e32 v12, vcc, v12, v18
	v_addc_co_u32_e32 v13, vcc, v13, v19, vcc
	v_add_co_u32_e32 v11, vcc, s2, v6
	v_addc_co_u32_e32 v15, vcc, v7, v1, vcc
	;; [unrolled: 2-line block ×7, first 2 shown]
	s_mov_b64 s[14:15], 0
	s_movk_i32 s9, 0x1000
.LBB12_28:                              ; =>This Inner Loop Header: Depth=1
	flat_load_dword v1, v[12:13] glc slc
	flat_load_dword v11, v[12:13] offset:256 glc slc
	flat_load_dword v20, v[12:13] offset:512 glc slc
	;; [unrolled: 1-line block ×3, first 2 shown]
	flat_load_dword v22, v[14:15] glc slc
	flat_load_dword v23, v[14:15] offset:256 glc slc
	flat_load_dword v24, v[14:15] offset:512 glc slc
	;; [unrolled: 1-line block ×3, first 2 shown]
	v_add_co_u32_e32 v12, vcc, s9, v12
	v_addc_co_u32_e32 v13, vcc, 0, v13, vcc
	v_add_co_u32_e32 v14, vcc, s9, v14
	v_addc_co_u32_e32 v15, vcc, 0, v15, vcc
	v_add_u32_e32 v10, 0x400, v10
	v_cmp_le_i32_e64 s[2:3], s17, v10
	s_or_b64 s[14:15], s[2:3], s[14:15]
	s_waitcnt vmcnt(0) lgkmcnt(0)
	v_add_f32_e32 v1, v1, v22
	v_add_f32_e32 v11, v11, v23
	;; [unrolled: 1-line block ×4, first 2 shown]
	flat_store_dword v[16:17], v1 glc slc
	flat_store_dword v[16:17], v11 offset:256 glc slc
	flat_store_dword v[16:17], v20 offset:512 glc slc
	;; [unrolled: 1-line block ×3, first 2 shown]
	flat_store_dword v[18:19], v1 glc slc
	flat_store_dword v[18:19], v11 offset:256 glc slc
	flat_store_dword v[18:19], v20 offset:512 glc slc
	;; [unrolled: 1-line block ×3, first 2 shown]
	v_add_co_u32_e32 v16, vcc, 0x1000, v16
	v_addc_co_u32_e32 v17, vcc, 0, v17, vcc
	v_add_co_u32_e32 v18, vcc, 0x1000, v18
	v_addc_co_u32_e32 v19, vcc, 0, v19, vcc
	s_andn2_b64 exec, exec, s[14:15]
	s_cbranch_execnz .LBB12_28
.LBB12_29:
	s_or_b64 exec, exec, s[12:13]
	s_and_b32 s2, s16, 0xff
	v_cmp_gt_u32_e32 vcc, s2, v0
	s_and_saveexec_b64 s[2:3], vcc
	s_cbranch_execz .LBB12_31
; %bb.30:
	s_add_i32 s8, s17, s8
	s_ashr_i32 s9, s8, 31
	s_lshl_b64 s[8:9], s[8:9], 2
	v_mov_b32_e32 v10, s9
	v_add_co_u32_e32 v1, vcc, s8, v8
	v_addc_co_u32_e32 v8, vcc, v9, v10, vcc
	v_lshlrev_b32_e32 v9, 2, v0
	v_add_co_u32_e32 v0, vcc, v1, v9
	v_addc_co_u32_e32 v1, vcc, 0, v8, vcc
	v_add_co_u32_e32 v6, vcc, s8, v6
	v_addc_co_u32_e32 v7, vcc, v7, v10, vcc
	;; [unrolled: 2-line block ×3, first 2 shown]
	flat_load_dword v8, v[0:1] glc slc
	flat_load_dword v11, v[6:7] glc slc
	v_add_co_u32_e32 v0, vcc, s8, v4
	v_addc_co_u32_e32 v1, vcc, v5, v10, vcc
	v_add_co_u32_e32 v2, vcc, s8, v2
	v_addc_co_u32_e32 v3, vcc, v3, v10, vcc
	v_add_co_u32_e32 v0, vcc, v0, v9
	v_addc_co_u32_e32 v1, vcc, 0, v1, vcc
	v_add_co_u32_e32 v2, vcc, v2, v9
	v_addc_co_u32_e32 v3, vcc, 0, v3, vcc
	s_waitcnt vmcnt(0) lgkmcnt(0)
	v_add_f32_e32 v4, v8, v11
	flat_store_dword v[0:1], v4 glc slc
	flat_store_dword v[2:3], v4 glc slc
.LBB12_31:
	s_or_b64 exec, exec, s[2:3]
.LBB12_32:
	s_waitcnt lgkmcnt(0)
	s_barrier
	s_and_saveexec_b64 s[2:3], s[0:1]
	s_cbranch_execz .LBB12_37
; %bb.33:
	s_lshl_b64 s[0:1], s[6:7], 3
	s_memrealtime s[6:7]
	s_mov_b64 s[8:9], exec
	v_mbcnt_lo_u32_b32 v0, s8, 0
	s_add_u32 s0, s10, s0
	v_mbcnt_hi_u32_b32 v0, s9, v0
	s_addc_u32 s1, s11, s1
	v_cmp_eq_u32_e32 vcc, 0, v0
	s_and_saveexec_b64 s[2:3], vcc
	s_cbranch_execz .LBB12_35
; %bb.34:
	s_waitcnt lgkmcnt(0)
	s_sub_u32 s4, s6, s4
	s_subb_u32 s5, s7, s5
	s_bcnt1_i32_b64 s6, s[8:9]
	s_mul_i32 s5, s5, s6
	s_mul_hi_u32 s7, s4, s6
	s_add_i32 s7, s7, s5
	s_mul_i32 s4, s4, s6
	v_mov_b32_e32 v0, s4
	v_mov_b32_e32 v1, s7
	;; [unrolled: 1-line block ×3, first 2 shown]
	buffer_wbl2
	s_waitcnt vmcnt(0)
	global_atomic_add_x2 v2, v[0:1], s[0:1]
	s_waitcnt vmcnt(0)
	buffer_invl2
	buffer_wbinvl1_vol
.LBB12_35:
	s_or_b64 exec, exec, s[2:3]
	s_mov_b64 s[2:3], exec
	v_mbcnt_lo_u32_b32 v0, s2, 0
	v_mbcnt_hi_u32_b32 v0, s3, v0
	v_cmp_eq_u32_e32 vcc, 0, v0
	s_and_b64 s[4:5], exec, vcc
	s_mov_b64 exec, s[4:5]
	s_cbranch_execz .LBB12_37
; %bb.36:
	s_bcnt1_i32_b64 s2, s[2:3]
	s_mul_hi_i32 s3, s18, s2
	s_mul_i32 s2, s18, s2
	s_lshl_b64 s[2:3], s[2:3], 2
	v_mov_b32_e32 v2, 0
	v_pk_mov_b32 v[0:1], s[2:3], s[2:3] op_sel:[0,1]
	buffer_wbl2
	s_waitcnt vmcnt(0) lgkmcnt(0)
	global_atomic_add_x2 v2, v[0:1], s[0:1] offset:448
	s_waitcnt vmcnt(0)
	buffer_invl2
	buffer_wbinvl1_vol
.LBB12_37:
	s_endpgm
	.section	.rodata,"a",@progbits
	.p2align	6, 0x0
	.amdhsa_kernel _Z16flag_sync_kernelILi5ELi1EEvP15transfer_data_tP16profiling_data_tm
		.amdhsa_group_segment_fixed_size 0
		.amdhsa_private_segment_fixed_size 0
		.amdhsa_kernarg_size 24
		.amdhsa_user_sgpr_count 6
		.amdhsa_user_sgpr_private_segment_buffer 1
		.amdhsa_user_sgpr_dispatch_ptr 0
		.amdhsa_user_sgpr_queue_ptr 0
		.amdhsa_user_sgpr_kernarg_segment_ptr 1
		.amdhsa_user_sgpr_dispatch_id 0
		.amdhsa_user_sgpr_flat_scratch_init 0
		.amdhsa_user_sgpr_kernarg_preload_length 0
		.amdhsa_user_sgpr_kernarg_preload_offset 0
		.amdhsa_user_sgpr_private_segment_size 0
		.amdhsa_uses_dynamic_stack 0
		.amdhsa_system_sgpr_private_segment_wavefront_offset 0
		.amdhsa_system_sgpr_workgroup_id_x 1
		.amdhsa_system_sgpr_workgroup_id_y 0
		.amdhsa_system_sgpr_workgroup_id_z 0
		.amdhsa_system_sgpr_workgroup_info 0
		.amdhsa_system_vgpr_workitem_id 0
		.amdhsa_next_free_vgpr 52
		.amdhsa_next_free_sgpr 22
		.amdhsa_accum_offset 52
		.amdhsa_reserve_vcc 1
		.amdhsa_reserve_flat_scratch 0
		.amdhsa_float_round_mode_32 0
		.amdhsa_float_round_mode_16_64 0
		.amdhsa_float_denorm_mode_32 3
		.amdhsa_float_denorm_mode_16_64 3
		.amdhsa_dx10_clamp 1
		.amdhsa_ieee_mode 1
		.amdhsa_fp16_overflow 0
		.amdhsa_tg_split 0
		.amdhsa_exception_fp_ieee_invalid_op 0
		.amdhsa_exception_fp_denorm_src 0
		.amdhsa_exception_fp_ieee_div_zero 0
		.amdhsa_exception_fp_ieee_overflow 0
		.amdhsa_exception_fp_ieee_underflow 0
		.amdhsa_exception_fp_ieee_inexact 0
		.amdhsa_exception_int_div_zero 0
	.end_amdhsa_kernel
	.section	.text._Z16flag_sync_kernelILi5ELi1EEvP15transfer_data_tP16profiling_data_tm,"axG",@progbits,_Z16flag_sync_kernelILi5ELi1EEvP15transfer_data_tP16profiling_data_tm,comdat
.Lfunc_end12:
	.size	_Z16flag_sync_kernelILi5ELi1EEvP15transfer_data_tP16profiling_data_tm, .Lfunc_end12-_Z16flag_sync_kernelILi5ELi1EEvP15transfer_data_tP16profiling_data_tm
                                        ; -- End function
	.section	.AMDGPU.csdata,"",@progbits
; Kernel info:
; codeLenInByte = 1892
; NumSgprs: 26
; NumVgprs: 52
; NumAgprs: 0
; TotalNumVgprs: 52
; ScratchSize: 0
; MemoryBound: 0
; FloatMode: 240
; IeeeMode: 1
; LDSByteSize: 0 bytes/workgroup (compile time only)
; SGPRBlocks: 3
; VGPRBlocks: 6
; NumSGPRsForWavesPerEU: 26
; NumVGPRsForWavesPerEU: 52
; AccumOffset: 52
; Occupancy: 8
; WaveLimiterHint : 1
; COMPUTE_PGM_RSRC2:SCRATCH_EN: 0
; COMPUTE_PGM_RSRC2:USER_SGPR: 6
; COMPUTE_PGM_RSRC2:TRAP_HANDLER: 0
; COMPUTE_PGM_RSRC2:TGID_X_EN: 1
; COMPUTE_PGM_RSRC2:TGID_Y_EN: 0
; COMPUTE_PGM_RSRC2:TGID_Z_EN: 0
; COMPUTE_PGM_RSRC2:TIDIG_COMP_CNT: 0
; COMPUTE_PGM_RSRC3_GFX90A:ACCUM_OFFSET: 12
; COMPUTE_PGM_RSRC3_GFX90A:TG_SPLIT: 0
	.section	.text._Z16flag_sync_kernelILi6ELi0EEvP15transfer_data_tP16profiling_data_tm,"axG",@progbits,_Z16flag_sync_kernelILi6ELi0EEvP15transfer_data_tP16profiling_data_tm,comdat
	.protected	_Z16flag_sync_kernelILi6ELi0EEvP15transfer_data_tP16profiling_data_tm ; -- Begin function _Z16flag_sync_kernelILi6ELi0EEvP15transfer_data_tP16profiling_data_tm
	.globl	_Z16flag_sync_kernelILi6ELi0EEvP15transfer_data_tP16profiling_data_tm
	.p2align	8
	.type	_Z16flag_sync_kernelILi6ELi0EEvP15transfer_data_tP16profiling_data_tm,@function
_Z16flag_sync_kernelILi6ELi0EEvP15transfer_data_tP16profiling_data_tm: ; @_Z16flag_sync_kernelILi6ELi0EEvP15transfer_data_tP16profiling_data_tm
; %bb.0:
	s_load_dwordx4 s[8:11], s[4:5], 0x0
	v_cmp_eq_u32_e64 s[0:1], 0, v0
	s_waitcnt lgkmcnt(0)
	s_load_dword s14, s[8:9], 0x8c0
	s_and_saveexec_b64 s[2:3], s[0:1]
	s_cbranch_execz .LBB13_3
; %bb.1:
	s_mov_b64 s[4:5], exec
	v_mbcnt_lo_u32_b32 v1, s4, 0
	v_mbcnt_hi_u32_b32 v1, s5, v1
	v_cmp_eq_u32_e32 vcc, 0, v1
	s_and_b64 s[12:13], exec, vcc
	s_mov_b64 exec, s[12:13]
	s_cbranch_execz .LBB13_3
; %bb.2:
	s_load_dword s12, s[8:9], 0x8c4
	s_load_dwordx2 s[16:17], s[8:9], 0x8d0
	v_mov_b32_e32 v3, 0
	s_waitcnt lgkmcnt(0)
	s_ashr_i32 s13, s12, 31
	s_lshl_b64 s[12:13], s[12:13], 3
	s_add_u32 s12, s16, s12
	s_addc_u32 s13, s17, s13
	s_bcnt1_i32_b64 s4, s[4:5]
	v_mov_b32_e32 v2, s4
	buffer_wbl2
	global_atomic_add_x2 v3, v[2:3], s[12:13]
	s_waitcnt vmcnt(0)
	buffer_invl2
	buffer_wbinvl1_vol
.LBB13_3:
	s_or_b64 exec, exec, s[2:3]
	s_waitcnt lgkmcnt(0)
	s_barrier
	s_waitcnt lgkmcnt(0)
                                        ; implicit-def: $sgpr4_sgpr5
	s_and_saveexec_b64 s[2:3], s[0:1]
	s_cbranch_execz .LBB13_5
; %bb.4:
	s_memrealtime s[4:5]
.LBB13_5:
	s_or_b64 exec, exec, s[2:3]
	s_ashr_i32 s7, s6, 31
	s_cmp_lt_i32 s14, 1
	s_cbranch_scc1 .LBB13_28
; %bb.6:
	s_lshl_b64 s[2:3], s[6:7], 3
	s_add_u32 s2, s8, s2
	s_addc_u32 s3, s9, s3
	v_mov_b32_e32 v1, 0
	global_load_dwordx2 v[2:3], v1, s[2:3]
	global_load_dwordx2 v[4:5], v1, s[2:3] offset:448
	v_lshrrev_b32_e32 v6, 6, v0
	v_and_b32_e32 v7, 63, v0
	s_mov_b32 s2, 0
	s_waitcnt vmcnt(0)
	v_or_b32_e32 v1, v4, v2
	v_and_b32_e32 v1, 3, v1
	v_cmp_eq_u32_e32 vcc, 0, v1
	v_lshl_or_b32 v1, v6, 9, v7
	s_cbranch_vccnz .LBB13_9
; %bb.7:
	v_lshl_or_b32 v6, v6, 9, v7
	s_mov_b64 s[8:9], -1
	s_mov_b32 s15, s14
	s_cbranch_execz .LBB13_10
; %bb.8:
	s_and_b64 vcc, exec, s[8:9]
	s_cbranch_vccnz .LBB13_21
	s_branch .LBB13_28
.LBB13_9:
	s_mov_b64 s[8:9], 0
                                        ; implicit-def: $sgpr15
                                        ; implicit-def: $sgpr2
                                        ; implicit-def: $vgpr6
.LBB13_10:
	s_lshr_b32 s2, s14, 2
	s_and_b32 s15, s2, 0x1ffffe00
	v_cmp_gt_u32_e32 vcc, s15, v1
	s_and_saveexec_b64 s[8:9], vcc
	s_cbranch_execz .LBB13_13
; %bb.11:
	v_lshlrev_b32_e32 v8, 4, v1
	v_add_co_u32_e32 v6, vcc, v4, v8
	v_addc_co_u32_e32 v7, vcc, 0, v5, vcc
	v_add_co_u32_e32 v8, vcc, v2, v8
	v_addc_co_u32_e32 v9, vcc, 0, v3, vcc
	s_mov_b64 s[12:13], 0
	s_movk_i32 s16, 0x1000
	v_mov_b32_e32 v10, v1
.LBB13_12:                              ; =>This Inner Loop Header: Depth=1
	flat_load_dwordx4 v[12:15], v[8:9] glc slc
	flat_load_dwordx4 v[16:19], v[8:9] offset:1024 glc slc
	flat_load_dwordx4 v[20:23], v[8:9] offset:2048 glc slc
	;; [unrolled: 1-line block ×3, first 2 shown]
	v_add_co_u32_e32 v44, vcc, 0x1000, v8
	s_mov_b64 s[2:3], vcc
	v_addc_co_u32_e32 v47, vcc, 0, v9, vcc
	v_mov_b32_e32 v46, v44
	v_addc_co_u32_e64 v45, s[2:3], 0, v9, s[2:3]
	flat_load_dwordx4 v[28:31], v[46:47] glc slc
	flat_load_dwordx4 v[32:35], v[44:45] offset:1024 glc slc
	flat_load_dwordx4 v[36:39], v[44:45] offset:2048 glc slc
	;; [unrolled: 1-line block ×3, first 2 shown]
	v_add_co_u32_e32 v44, vcc, s16, v6
	v_addc_co_u32_e32 v45, vcc, 0, v7, vcc
	v_add_co_u32_e32 v8, vcc, 0x8000, v8
	v_add_u32_e32 v10, 0x800, v10
	v_addc_co_u32_e32 v9, vcc, 0, v9, vcc
	v_cmp_le_u32_e64 s[2:3], s15, v10
	s_or_b64 s[12:13], s[2:3], s[12:13]
	s_waitcnt vmcnt(0) lgkmcnt(0)
	flat_store_dwordx4 v[6:7], v[12:15] glc slc
	flat_store_dwordx4 v[6:7], v[16:19] offset:1024 glc slc
	flat_store_dwordx4 v[6:7], v[20:23] offset:2048 glc slc
	;; [unrolled: 1-line block ×3, first 2 shown]
	v_add_co_u32_e32 v6, vcc, 0x8000, v6
	v_addc_co_u32_e32 v7, vcc, 0, v7, vcc
	flat_store_dwordx4 v[44:45], v[28:31] glc slc
	flat_store_dwordx4 v[44:45], v[32:35] offset:1024 glc slc
	flat_store_dwordx4 v[44:45], v[36:39] offset:2048 glc slc
	;; [unrolled: 1-line block ×3, first 2 shown]
	s_andn2_b64 exec, exec, s[12:13]
	s_cbranch_execnz .LBB13_12
.LBB13_13:
	s_or_b64 exec, exec, s[8:9]
	s_lshl_b32 s2, s15, 2
	s_cmp_eq_u32 s14, s2
	s_cbranch_scc1 .LBB13_19
; %bb.14:
	s_sub_i32 s16, s14, s2
	s_ashr_i32 s15, s16, 2
	v_cmp_gt_i32_e32 vcc, s15, v0
	s_and_saveexec_b64 s[8:9], vcc
	s_cbranch_execz .LBB13_17
; %bb.15:
	s_mov_b32 s3, 0
	s_lshl_b64 s[12:13], s[2:3], 2
	v_mov_b32_e32 v8, s13
	v_add_co_u32_e32 v6, vcc, s12, v4
	v_addc_co_u32_e32 v7, vcc, v5, v8, vcc
	v_lshlrev_b32_e32 v9, 4, v0
	v_add_co_u32_e32 v6, vcc, v6, v9
	v_addc_co_u32_e32 v7, vcc, 0, v7, vcc
	v_add_co_u32_e32 v10, vcc, s12, v2
	v_addc_co_u32_e32 v11, vcc, v3, v8, vcc
	;; [unrolled: 2-line block ×3, first 2 shown]
	s_mov_b64 s[12:13], 0
	v_mov_b32_e32 v10, v0
.LBB13_16:                              ; =>This Inner Loop Header: Depth=1
	flat_load_dwordx4 v[12:15], v[8:9] glc slc
	v_add_co_u32_e32 v8, vcc, 0x1000, v8
	v_add_u32_e32 v10, 0x100, v10
	v_addc_co_u32_e32 v9, vcc, 0, v9, vcc
	v_cmp_le_i32_e32 vcc, s15, v10
	s_or_b64 s[12:13], vcc, s[12:13]
	s_waitcnt vmcnt(0) lgkmcnt(0)
	flat_store_dwordx4 v[6:7], v[12:15] glc slc
	v_add_co_u32_e32 v6, vcc, 0x1000, v6
	v_addc_co_u32_e32 v7, vcc, 0, v7, vcc
	s_andn2_b64 exec, exec, s[12:13]
	s_cbranch_execnz .LBB13_16
.LBB13_17:
	s_or_b64 exec, exec, s[8:9]
	s_and_b32 s3, s14, 3
	s_cmp_eq_u32 s3, 0
	s_mov_b32 s15, 0
	s_cbranch_scc1 .LBB13_20
; %bb.18:
	s_and_b32 s8, s16, -4
	s_add_i32 s2, s8, s2
	s_mov_b32 s15, s3
	v_mov_b32_e32 v6, v1
	s_cbranch_execnz .LBB13_21
	s_branch .LBB13_28
.LBB13_19:
	s_mov_b32 s15, 0
	s_mov_b32 s2, 0
	v_mov_b32_e32 v6, v1
	s_branch .LBB13_28
.LBB13_20:
	v_mov_b32_e32 v6, v1
	s_branch .LBB13_28
.LBB13_21:
	s_and_b32 s16, s15, 0xfffffe00
	v_cmp_gt_i32_e32 vcc, s16, v6
	s_and_saveexec_b64 s[8:9], vcc
	s_cbranch_execz .LBB13_24
; %bb.22:
	s_ashr_i32 s3, s2, 31
	s_lshl_b64 s[12:13], s[2:3], 2
	v_mov_b32_e32 v1, s13
	v_add_co_u32_e32 v8, vcc, s12, v4
	v_mov_b32_e32 v7, 0
	v_addc_co_u32_e32 v9, vcc, v5, v1, vcc
	v_lshlrev_b64 v[10:11], 2, v[6:7]
	v_add_co_u32_e32 v8, vcc, v8, v10
	v_addc_co_u32_e32 v9, vcc, v9, v11, vcc
	v_add_co_u32_e32 v7, vcc, s12, v2
	v_addc_co_u32_e32 v1, vcc, v3, v1, vcc
	;; [unrolled: 2-line block ×3, first 2 shown]
	s_mov_b64 s[12:13], 0
.LBB13_23:                              ; =>This Inner Loop Header: Depth=1
	flat_load_dword v1, v[10:11] glc slc
	flat_load_dword v7, v[10:11] offset:256 glc slc
	flat_load_dword v12, v[10:11] offset:512 glc slc
	flat_load_dword v13, v[10:11] offset:768 glc slc
	flat_load_dword v14, v[10:11] offset:1024 glc slc
	flat_load_dword v15, v[10:11] offset:1280 glc slc
	flat_load_dword v16, v[10:11] offset:1536 glc slc
	flat_load_dword v17, v[10:11] offset:1792 glc slc
	v_add_co_u32_e32 v10, vcc, 0x2000, v10
	v_add_u32_e32 v6, 0x800, v6
	v_addc_co_u32_e32 v11, vcc, 0, v11, vcc
	v_cmp_le_i32_e32 vcc, s16, v6
	s_or_b64 s[12:13], vcc, s[12:13]
	s_waitcnt vmcnt(0) lgkmcnt(0)
	flat_store_dword v[8:9], v1 glc slc
	flat_store_dword v[8:9], v7 offset:256 glc slc
	flat_store_dword v[8:9], v12 offset:512 glc slc
	;; [unrolled: 1-line block ×7, first 2 shown]
	v_add_co_u32_e32 v8, vcc, 0x2000, v8
	v_addc_co_u32_e32 v9, vcc, 0, v9, vcc
	s_andn2_b64 exec, exec, s[12:13]
	s_cbranch_execnz .LBB13_23
.LBB13_24:
	s_or_b64 exec, exec, s[8:9]
	s_and_b32 s12, s15, 0x1ff
	v_cmp_gt_u32_e32 vcc, s12, v0
	s_and_saveexec_b64 s[8:9], vcc
	s_cbranch_execz .LBB13_27
; %bb.25:
	s_add_i32 s2, s16, s2
	s_ashr_i32 s3, s2, 31
	s_lshl_b64 s[2:3], s[2:3], 2
	v_mov_b32_e32 v1, s3
	v_add_co_u32_e32 v4, vcc, s2, v4
	v_addc_co_u32_e32 v5, vcc, v5, v1, vcc
	v_lshlrev_b32_e32 v6, 2, v0
	v_add_co_u32_e32 v4, vcc, v4, v6
	v_addc_co_u32_e32 v5, vcc, 0, v5, vcc
	v_add_co_u32_e32 v2, vcc, s2, v2
	v_addc_co_u32_e32 v1, vcc, v3, v1, vcc
	;; [unrolled: 2-line block ×3, first 2 shown]
	s_mov_b64 s[2:3], 0
.LBB13_26:                              ; =>This Inner Loop Header: Depth=1
	flat_load_dword v1, v[2:3] glc slc
	v_add_co_u32_e32 v2, vcc, 0x400, v2
	v_add_u32_e32 v0, 0x100, v0
	v_addc_co_u32_e32 v3, vcc, 0, v3, vcc
	v_cmp_le_u32_e32 vcc, s12, v0
	s_or_b64 s[2:3], vcc, s[2:3]
	s_waitcnt vmcnt(0) lgkmcnt(0)
	flat_store_dword v[4:5], v1 glc slc
	v_add_co_u32_e32 v4, vcc, 0x400, v4
	v_addc_co_u32_e32 v5, vcc, 0, v5, vcc
	s_andn2_b64 exec, exec, s[2:3]
	s_cbranch_execnz .LBB13_26
.LBB13_27:
	s_or_b64 exec, exec, s[8:9]
.LBB13_28:
	s_waitcnt lgkmcnt(0)
	s_barrier
	s_and_saveexec_b64 s[2:3], s[0:1]
	s_cbranch_execz .LBB13_33
; %bb.29:
	s_lshl_b64 s[0:1], s[6:7], 3
	s_memrealtime s[6:7]
	s_mov_b64 s[8:9], exec
	v_mbcnt_lo_u32_b32 v0, s8, 0
	s_add_u32 s0, s10, s0
	v_mbcnt_hi_u32_b32 v0, s9, v0
	s_addc_u32 s1, s11, s1
	v_cmp_eq_u32_e32 vcc, 0, v0
	s_and_saveexec_b64 s[2:3], vcc
	s_cbranch_execz .LBB13_31
; %bb.30:
	s_waitcnt lgkmcnt(0)
	s_sub_u32 s4, s6, s4
	s_subb_u32 s5, s7, s5
	s_bcnt1_i32_b64 s6, s[8:9]
	s_mul_i32 s5, s5, s6
	s_mul_hi_u32 s7, s4, s6
	s_add_i32 s7, s7, s5
	s_mul_i32 s4, s4, s6
	v_mov_b32_e32 v0, s4
	v_mov_b32_e32 v1, s7
	;; [unrolled: 1-line block ×3, first 2 shown]
	buffer_wbl2
	s_waitcnt vmcnt(0)
	global_atomic_add_x2 v2, v[0:1], s[0:1]
	s_waitcnt vmcnt(0)
	buffer_invl2
	buffer_wbinvl1_vol
.LBB13_31:
	s_or_b64 exec, exec, s[2:3]
	s_mov_b64 s[2:3], exec
	v_mbcnt_lo_u32_b32 v0, s2, 0
	v_mbcnt_hi_u32_b32 v0, s3, v0
	v_cmp_eq_u32_e32 vcc, 0, v0
	s_and_b64 s[4:5], exec, vcc
	s_mov_b64 exec, s[4:5]
	s_cbranch_execz .LBB13_33
; %bb.32:
	s_bcnt1_i32_b64 s2, s[2:3]
	s_mul_hi_i32 s3, s14, s2
	s_mul_i32 s2, s14, s2
	s_lshl_b64 s[2:3], s[2:3], 2
	v_mov_b32_e32 v2, 0
	v_pk_mov_b32 v[0:1], s[2:3], s[2:3] op_sel:[0,1]
	buffer_wbl2
	s_waitcnt vmcnt(0) lgkmcnt(0)
	global_atomic_add_x2 v2, v[0:1], s[0:1] offset:448
	s_waitcnt vmcnt(0)
	buffer_invl2
	buffer_wbinvl1_vol
.LBB13_33:
	s_endpgm
	.section	.rodata,"a",@progbits
	.p2align	6, 0x0
	.amdhsa_kernel _Z16flag_sync_kernelILi6ELi0EEvP15transfer_data_tP16profiling_data_tm
		.amdhsa_group_segment_fixed_size 0
		.amdhsa_private_segment_fixed_size 0
		.amdhsa_kernarg_size 24
		.amdhsa_user_sgpr_count 6
		.amdhsa_user_sgpr_private_segment_buffer 1
		.amdhsa_user_sgpr_dispatch_ptr 0
		.amdhsa_user_sgpr_queue_ptr 0
		.amdhsa_user_sgpr_kernarg_segment_ptr 1
		.amdhsa_user_sgpr_dispatch_id 0
		.amdhsa_user_sgpr_flat_scratch_init 0
		.amdhsa_user_sgpr_kernarg_preload_length 0
		.amdhsa_user_sgpr_kernarg_preload_offset 0
		.amdhsa_user_sgpr_private_segment_size 0
		.amdhsa_uses_dynamic_stack 0
		.amdhsa_system_sgpr_private_segment_wavefront_offset 0
		.amdhsa_system_sgpr_workgroup_id_x 1
		.amdhsa_system_sgpr_workgroup_id_y 0
		.amdhsa_system_sgpr_workgroup_id_z 0
		.amdhsa_system_sgpr_workgroup_info 0
		.amdhsa_system_vgpr_workitem_id 0
		.amdhsa_next_free_vgpr 48
		.amdhsa_next_free_sgpr 18
		.amdhsa_accum_offset 48
		.amdhsa_reserve_vcc 1
		.amdhsa_reserve_flat_scratch 0
		.amdhsa_float_round_mode_32 0
		.amdhsa_float_round_mode_16_64 0
		.amdhsa_float_denorm_mode_32 3
		.amdhsa_float_denorm_mode_16_64 3
		.amdhsa_dx10_clamp 1
		.amdhsa_ieee_mode 1
		.amdhsa_fp16_overflow 0
		.amdhsa_tg_split 0
		.amdhsa_exception_fp_ieee_invalid_op 0
		.amdhsa_exception_fp_denorm_src 0
		.amdhsa_exception_fp_ieee_div_zero 0
		.amdhsa_exception_fp_ieee_overflow 0
		.amdhsa_exception_fp_ieee_underflow 0
		.amdhsa_exception_fp_ieee_inexact 0
		.amdhsa_exception_int_div_zero 0
	.end_amdhsa_kernel
	.section	.text._Z16flag_sync_kernelILi6ELi0EEvP15transfer_data_tP16profiling_data_tm,"axG",@progbits,_Z16flag_sync_kernelILi6ELi0EEvP15transfer_data_tP16profiling_data_tm,comdat
.Lfunc_end13:
	.size	_Z16flag_sync_kernelILi6ELi0EEvP15transfer_data_tP16profiling_data_tm, .Lfunc_end13-_Z16flag_sync_kernelILi6ELi0EEvP15transfer_data_tP16profiling_data_tm
                                        ; -- End function
	.section	.AMDGPU.csdata,"",@progbits
; Kernel info:
; codeLenInByte = 1492
; NumSgprs: 22
; NumVgprs: 48
; NumAgprs: 0
; TotalNumVgprs: 48
; ScratchSize: 0
; MemoryBound: 0
; FloatMode: 240
; IeeeMode: 1
; LDSByteSize: 0 bytes/workgroup (compile time only)
; SGPRBlocks: 2
; VGPRBlocks: 5
; NumSGPRsForWavesPerEU: 22
; NumVGPRsForWavesPerEU: 48
; AccumOffset: 48
; Occupancy: 8
; WaveLimiterHint : 1
; COMPUTE_PGM_RSRC2:SCRATCH_EN: 0
; COMPUTE_PGM_RSRC2:USER_SGPR: 6
; COMPUTE_PGM_RSRC2:TRAP_HANDLER: 0
; COMPUTE_PGM_RSRC2:TGID_X_EN: 1
; COMPUTE_PGM_RSRC2:TGID_Y_EN: 0
; COMPUTE_PGM_RSRC2:TGID_Z_EN: 0
; COMPUTE_PGM_RSRC2:TIDIG_COMP_CNT: 0
; COMPUTE_PGM_RSRC3_GFX90A:ACCUM_OFFSET: 11
; COMPUTE_PGM_RSRC3_GFX90A:TG_SPLIT: 0
	.section	.text._Z16flag_sync_kernelILi6ELi1EEvP15transfer_data_tP16profiling_data_tm,"axG",@progbits,_Z16flag_sync_kernelILi6ELi1EEvP15transfer_data_tP16profiling_data_tm,comdat
	.protected	_Z16flag_sync_kernelILi6ELi1EEvP15transfer_data_tP16profiling_data_tm ; -- Begin function _Z16flag_sync_kernelILi6ELi1EEvP15transfer_data_tP16profiling_data_tm
	.globl	_Z16flag_sync_kernelILi6ELi1EEvP15transfer_data_tP16profiling_data_tm
	.p2align	8
	.type	_Z16flag_sync_kernelILi6ELi1EEvP15transfer_data_tP16profiling_data_tm,@function
_Z16flag_sync_kernelILi6ELi1EEvP15transfer_data_tP16profiling_data_tm: ; @_Z16flag_sync_kernelILi6ELi1EEvP15transfer_data_tP16profiling_data_tm
; %bb.0:
	s_load_dwordx4 s[8:11], s[4:5], 0x0
	s_load_dwordx2 s[2:3], s[4:5], 0x10
	v_cmp_eq_u32_e64 s[0:1], 0, v0
	s_waitcnt lgkmcnt(0)
	s_load_dword s18, s[8:9], 0x8c0
	s_and_saveexec_b64 s[4:5], s[0:1]
	s_cbranch_execz .LBB14_8
; %bb.1:
	s_mov_b64 s[14:15], exec
	v_mbcnt_lo_u32_b32 v1, s14, 0
	v_mbcnt_hi_u32_b32 v1, s15, v1
	v_cmp_eq_u32_e32 vcc, 0, v1
	s_and_saveexec_b64 s[12:13], vcc
	s_cbranch_execz .LBB14_3
; %bb.2:
	s_load_dword s16, s[8:9], 0x8c4
	s_load_dwordx2 s[20:21], s[8:9], 0x8d0
	v_mov_b32_e32 v3, 0
	s_waitcnt lgkmcnt(0)
	s_ashr_i32 s17, s16, 31
	s_lshl_b64 s[16:17], s[16:17], 3
	s_add_u32 s16, s20, s16
	s_addc_u32 s17, s21, s17
	s_bcnt1_i32_b64 s7, s[14:15]
	v_mov_b32_e32 v2, s7
	buffer_wbl2
	global_atomic_add_x2 v3, v[2:3], s[16:17]
	s_waitcnt vmcnt(0)
	buffer_invl2
	buffer_wbinvl1_vol
.LBB14_3:
	s_or_b64 exec, exec, s[12:13]
	v_mov_b32_e32 v1, 0
	global_load_dword v2, v1, s[8:9] offset:2248
	s_waitcnt vmcnt(0)
	v_cmp_gt_i32_e32 vcc, 1, v2
	s_cbranch_vccnz .LBB14_8
; %bb.4:
	s_mov_b32 s13, 0
	s_mov_b32 s12, s13
.LBB14_5:                               ; =>This Loop Header: Depth=1
                                        ;     Child Loop BB14_6 Depth 2
	s_lshl_b64 s[16:17], s[12:13], 3
	s_mov_b64 s[14:15], 0
	v_mov_b32_e32 v2, s17
.LBB14_6:                               ;   Parent Loop BB14_5 Depth=1
                                        ; =>  This Inner Loop Header: Depth=2
	global_load_dwordx2 v[4:5], v1, s[8:9] offset:2256
	s_waitcnt vmcnt(0)
	v_add_co_u32_e32 v4, vcc, s16, v4
	v_addc_co_u32_e32 v5, vcc, v5, v2, vcc
	s_waitcnt lgkmcnt(0)
	flat_load_dwordx2 v[4:5], v[4:5] glc
	s_waitcnt vmcnt(0) lgkmcnt(0)
	buffer_invl2
	buffer_wbinvl1_vol
	v_cmp_le_u64_e32 vcc, s[2:3], v[4:5]
	s_or_b64 s[14:15], vcc, s[14:15]
	s_andn2_b64 exec, exec, s[14:15]
	s_cbranch_execnz .LBB14_6
; %bb.7:                                ;   in Loop: Header=BB14_5 Depth=1
	s_or_b64 exec, exec, s[14:15]
	global_load_dword v2, v1, s[8:9] offset:2248
	s_add_i32 s12, s12, 1
	s_waitcnt vmcnt(0)
	v_cmp_lt_i32_e32 vcc, s12, v2
	s_cbranch_vccnz .LBB14_5
.LBB14_8:
	s_or_b64 exec, exec, s[4:5]
	s_waitcnt lgkmcnt(0)
	s_barrier
	s_waitcnt lgkmcnt(0)
                                        ; implicit-def: $sgpr4_sgpr5
	s_and_saveexec_b64 s[2:3], s[0:1]
	s_cbranch_execz .LBB14_10
; %bb.9:
	s_memrealtime s[4:5]
.LBB14_10:
	s_or_b64 exec, exec, s[2:3]
	s_ashr_i32 s7, s6, 31
	s_cmp_lt_i32 s18, 1
	s_cbranch_scc1 .LBB14_33
; %bb.11:
	s_lshl_b64 s[2:3], s[6:7], 3
	s_add_u32 s2, s8, s2
	s_addc_u32 s3, s9, s3
	v_mov_b32_e32 v1, 0
	global_load_dwordx2 v[2:3], v1, s[2:3]
	global_load_dwordx2 v[4:5], v1, s[2:3] offset:448
	v_lshrrev_b32_e32 v6, 6, v0
	v_and_b32_e32 v7, 63, v0
	s_mov_b32 s2, 0
	s_waitcnt vmcnt(0)
	v_or_b32_e32 v1, v4, v2
	v_and_b32_e32 v1, 3, v1
	v_cmp_eq_u32_e32 vcc, 0, v1
	v_lshl_or_b32 v1, v6, 9, v7
	s_cbranch_vccnz .LBB14_14
; %bb.12:
	v_lshl_or_b32 v6, v6, 9, v7
	s_mov_b64 s[8:9], -1
	s_mov_b32 s14, s18
	s_cbranch_execz .LBB14_15
; %bb.13:
	s_and_b64 vcc, exec, s[8:9]
	s_cbranch_vccnz .LBB14_26
	s_branch .LBB14_33
.LBB14_14:
	s_mov_b64 s[8:9], 0
                                        ; implicit-def: $sgpr2
                                        ; implicit-def: $vgpr6
	s_mov_b32 s14, s18
.LBB14_15:
	s_lshr_b32 s2, s18, 2
	s_and_b32 s14, s2, 0x1ffffe00
	v_cmp_gt_u32_e32 vcc, s14, v1
	s_and_saveexec_b64 s[8:9], vcc
	s_cbranch_execz .LBB14_18
; %bb.16:
	v_lshlrev_b32_e32 v8, 4, v1
	v_add_co_u32_e32 v6, vcc, v4, v8
	v_addc_co_u32_e32 v7, vcc, 0, v5, vcc
	v_add_co_u32_e32 v8, vcc, v2, v8
	v_addc_co_u32_e32 v9, vcc, 0, v3, vcc
	s_mov_b64 s[12:13], 0
	s_movk_i32 s15, 0x1000
	v_mov_b32_e32 v10, v1
.LBB14_17:                              ; =>This Inner Loop Header: Depth=1
	flat_load_dwordx4 v[12:15], v[8:9] glc slc
	flat_load_dwordx4 v[16:19], v[8:9] offset:1024 glc slc
	flat_load_dwordx4 v[20:23], v[8:9] offset:2048 glc slc
	;; [unrolled: 1-line block ×3, first 2 shown]
	v_add_co_u32_e32 v44, vcc, 0x1000, v8
	s_mov_b64 s[2:3], vcc
	v_addc_co_u32_e32 v47, vcc, 0, v9, vcc
	v_mov_b32_e32 v46, v44
	v_addc_co_u32_e64 v45, s[2:3], 0, v9, s[2:3]
	flat_load_dwordx4 v[28:31], v[46:47] glc slc
	flat_load_dwordx4 v[32:35], v[44:45] offset:1024 glc slc
	flat_load_dwordx4 v[36:39], v[44:45] offset:2048 glc slc
	flat_load_dwordx4 v[40:43], v[44:45] offset:3072 glc slc
	v_add_co_u32_e32 v44, vcc, s15, v6
	v_addc_co_u32_e32 v45, vcc, 0, v7, vcc
	v_add_co_u32_e32 v8, vcc, 0x8000, v8
	v_add_u32_e32 v10, 0x800, v10
	v_addc_co_u32_e32 v9, vcc, 0, v9, vcc
	v_cmp_le_u32_e64 s[2:3], s14, v10
	s_or_b64 s[12:13], s[2:3], s[12:13]
	s_waitcnt vmcnt(0) lgkmcnt(0)
	flat_store_dwordx4 v[6:7], v[12:15] glc slc
	flat_store_dwordx4 v[6:7], v[16:19] offset:1024 glc slc
	flat_store_dwordx4 v[6:7], v[20:23] offset:2048 glc slc
	;; [unrolled: 1-line block ×3, first 2 shown]
	v_add_co_u32_e32 v6, vcc, 0x8000, v6
	v_addc_co_u32_e32 v7, vcc, 0, v7, vcc
	flat_store_dwordx4 v[44:45], v[28:31] glc slc
	flat_store_dwordx4 v[44:45], v[32:35] offset:1024 glc slc
	flat_store_dwordx4 v[44:45], v[36:39] offset:2048 glc slc
	;; [unrolled: 1-line block ×3, first 2 shown]
	s_andn2_b64 exec, exec, s[12:13]
	s_cbranch_execnz .LBB14_17
.LBB14_18:
	s_or_b64 exec, exec, s[8:9]
	s_lshl_b32 s2, s14, 2
	s_cmp_eq_u32 s18, s2
	s_cbranch_scc1 .LBB14_24
; %bb.19:
	s_sub_i32 s15, s18, s2
	s_ashr_i32 s14, s15, 2
	v_cmp_gt_i32_e32 vcc, s14, v0
	s_and_saveexec_b64 s[8:9], vcc
	s_cbranch_execz .LBB14_22
; %bb.20:
	s_mov_b32 s3, 0
	s_lshl_b64 s[12:13], s[2:3], 2
	v_mov_b32_e32 v8, s13
	v_add_co_u32_e32 v6, vcc, s12, v4
	v_addc_co_u32_e32 v7, vcc, v5, v8, vcc
	v_lshlrev_b32_e32 v9, 4, v0
	v_add_co_u32_e32 v6, vcc, v6, v9
	v_addc_co_u32_e32 v7, vcc, 0, v7, vcc
	v_add_co_u32_e32 v10, vcc, s12, v2
	v_addc_co_u32_e32 v11, vcc, v3, v8, vcc
	;; [unrolled: 2-line block ×3, first 2 shown]
	s_mov_b64 s[12:13], 0
	v_mov_b32_e32 v10, v0
.LBB14_21:                              ; =>This Inner Loop Header: Depth=1
	flat_load_dwordx4 v[12:15], v[8:9] glc slc
	v_add_co_u32_e32 v8, vcc, 0x1000, v8
	v_add_u32_e32 v10, 0x100, v10
	v_addc_co_u32_e32 v9, vcc, 0, v9, vcc
	v_cmp_le_i32_e32 vcc, s14, v10
	s_or_b64 s[12:13], vcc, s[12:13]
	s_waitcnt vmcnt(0) lgkmcnt(0)
	flat_store_dwordx4 v[6:7], v[12:15] glc slc
	v_add_co_u32_e32 v6, vcc, 0x1000, v6
	v_addc_co_u32_e32 v7, vcc, 0, v7, vcc
	s_andn2_b64 exec, exec, s[12:13]
	s_cbranch_execnz .LBB14_21
.LBB14_22:
	s_or_b64 exec, exec, s[8:9]
	s_and_b32 s3, s18, 3
	s_cmp_eq_u32 s3, 0
	s_mov_b32 s14, 0
	s_cbranch_scc1 .LBB14_25
; %bb.23:
	s_and_b32 s8, s15, -4
	s_add_i32 s2, s8, s2
	s_mov_b32 s14, s3
	v_mov_b32_e32 v6, v1
	s_cbranch_execnz .LBB14_26
	s_branch .LBB14_33
.LBB14_24:
	s_mov_b32 s14, 0
	s_mov_b32 s2, 0
	v_mov_b32_e32 v6, v1
	s_branch .LBB14_33
.LBB14_25:
	v_mov_b32_e32 v6, v1
	s_branch .LBB14_33
.LBB14_26:
	s_and_b32 s15, s14, 0xfffffe00
	v_cmp_gt_i32_e32 vcc, s15, v6
	s_and_saveexec_b64 s[8:9], vcc
	s_cbranch_execz .LBB14_29
; %bb.27:
	s_ashr_i32 s3, s2, 31
	s_lshl_b64 s[12:13], s[2:3], 2
	v_mov_b32_e32 v1, s13
	v_add_co_u32_e32 v8, vcc, s12, v4
	v_mov_b32_e32 v7, 0
	v_addc_co_u32_e32 v9, vcc, v5, v1, vcc
	v_lshlrev_b64 v[10:11], 2, v[6:7]
	v_add_co_u32_e32 v8, vcc, v8, v10
	v_addc_co_u32_e32 v9, vcc, v9, v11, vcc
	v_add_co_u32_e32 v7, vcc, s12, v2
	v_addc_co_u32_e32 v1, vcc, v3, v1, vcc
	;; [unrolled: 2-line block ×3, first 2 shown]
	s_mov_b64 s[12:13], 0
.LBB14_28:                              ; =>This Inner Loop Header: Depth=1
	flat_load_dword v1, v[10:11] glc slc
	flat_load_dword v7, v[10:11] offset:256 glc slc
	flat_load_dword v12, v[10:11] offset:512 glc slc
	;; [unrolled: 1-line block ×7, first 2 shown]
	v_add_co_u32_e32 v10, vcc, 0x2000, v10
	v_add_u32_e32 v6, 0x800, v6
	v_addc_co_u32_e32 v11, vcc, 0, v11, vcc
	v_cmp_le_i32_e32 vcc, s15, v6
	s_or_b64 s[12:13], vcc, s[12:13]
	s_waitcnt vmcnt(0) lgkmcnt(0)
	flat_store_dword v[8:9], v1 glc slc
	flat_store_dword v[8:9], v7 offset:256 glc slc
	flat_store_dword v[8:9], v12 offset:512 glc slc
	;; [unrolled: 1-line block ×7, first 2 shown]
	v_add_co_u32_e32 v8, vcc, 0x2000, v8
	v_addc_co_u32_e32 v9, vcc, 0, v9, vcc
	s_andn2_b64 exec, exec, s[12:13]
	s_cbranch_execnz .LBB14_28
.LBB14_29:
	s_or_b64 exec, exec, s[8:9]
	s_and_b32 s12, s14, 0x1ff
	v_cmp_gt_u32_e32 vcc, s12, v0
	s_and_saveexec_b64 s[8:9], vcc
	s_cbranch_execz .LBB14_32
; %bb.30:
	s_add_i32 s2, s15, s2
	s_ashr_i32 s3, s2, 31
	s_lshl_b64 s[2:3], s[2:3], 2
	v_mov_b32_e32 v1, s3
	v_add_co_u32_e32 v4, vcc, s2, v4
	v_addc_co_u32_e32 v5, vcc, v5, v1, vcc
	v_lshlrev_b32_e32 v6, 2, v0
	v_add_co_u32_e32 v4, vcc, v4, v6
	v_addc_co_u32_e32 v5, vcc, 0, v5, vcc
	v_add_co_u32_e32 v2, vcc, s2, v2
	v_addc_co_u32_e32 v1, vcc, v3, v1, vcc
	;; [unrolled: 2-line block ×3, first 2 shown]
	s_mov_b64 s[2:3], 0
.LBB14_31:                              ; =>This Inner Loop Header: Depth=1
	flat_load_dword v1, v[2:3] glc slc
	v_add_co_u32_e32 v2, vcc, 0x400, v2
	v_add_u32_e32 v0, 0x100, v0
	v_addc_co_u32_e32 v3, vcc, 0, v3, vcc
	v_cmp_le_u32_e32 vcc, s12, v0
	s_or_b64 s[2:3], vcc, s[2:3]
	s_waitcnt vmcnt(0) lgkmcnt(0)
	flat_store_dword v[4:5], v1 glc slc
	v_add_co_u32_e32 v4, vcc, 0x400, v4
	v_addc_co_u32_e32 v5, vcc, 0, v5, vcc
	s_andn2_b64 exec, exec, s[2:3]
	s_cbranch_execnz .LBB14_31
.LBB14_32:
	s_or_b64 exec, exec, s[8:9]
.LBB14_33:
	s_waitcnt lgkmcnt(0)
	s_barrier
	s_and_saveexec_b64 s[2:3], s[0:1]
	s_cbranch_execz .LBB14_38
; %bb.34:
	s_lshl_b64 s[0:1], s[6:7], 3
	s_memrealtime s[6:7]
	s_mov_b64 s[8:9], exec
	v_mbcnt_lo_u32_b32 v0, s8, 0
	s_add_u32 s0, s10, s0
	v_mbcnt_hi_u32_b32 v0, s9, v0
	s_addc_u32 s1, s11, s1
	v_cmp_eq_u32_e32 vcc, 0, v0
	s_and_saveexec_b64 s[2:3], vcc
	s_cbranch_execz .LBB14_36
; %bb.35:
	s_waitcnt lgkmcnt(0)
	s_sub_u32 s4, s6, s4
	s_subb_u32 s5, s7, s5
	s_bcnt1_i32_b64 s6, s[8:9]
	s_mul_i32 s5, s5, s6
	s_mul_hi_u32 s7, s4, s6
	s_add_i32 s7, s7, s5
	s_mul_i32 s4, s4, s6
	v_mov_b32_e32 v0, s4
	v_mov_b32_e32 v1, s7
	;; [unrolled: 1-line block ×3, first 2 shown]
	buffer_wbl2
	s_waitcnt vmcnt(0)
	global_atomic_add_x2 v2, v[0:1], s[0:1]
	s_waitcnt vmcnt(0)
	buffer_invl2
	buffer_wbinvl1_vol
.LBB14_36:
	s_or_b64 exec, exec, s[2:3]
	s_mov_b64 s[2:3], exec
	v_mbcnt_lo_u32_b32 v0, s2, 0
	v_mbcnt_hi_u32_b32 v0, s3, v0
	v_cmp_eq_u32_e32 vcc, 0, v0
	s_and_b64 s[4:5], exec, vcc
	s_mov_b64 exec, s[4:5]
	s_cbranch_execz .LBB14_38
; %bb.37:
	s_bcnt1_i32_b64 s2, s[2:3]
	s_mul_hi_i32 s3, s18, s2
	s_mul_i32 s2, s18, s2
	s_lshl_b64 s[2:3], s[2:3], 2
	v_mov_b32_e32 v2, 0
	v_pk_mov_b32 v[0:1], s[2:3], s[2:3] op_sel:[0,1]
	buffer_wbl2
	s_waitcnt vmcnt(0) lgkmcnt(0)
	global_atomic_add_x2 v2, v[0:1], s[0:1] offset:448
	s_waitcnt vmcnt(0)
	buffer_invl2
	buffer_wbinvl1_vol
.LBB14_38:
	s_endpgm
	.section	.rodata,"a",@progbits
	.p2align	6, 0x0
	.amdhsa_kernel _Z16flag_sync_kernelILi6ELi1EEvP15transfer_data_tP16profiling_data_tm
		.amdhsa_group_segment_fixed_size 0
		.amdhsa_private_segment_fixed_size 0
		.amdhsa_kernarg_size 24
		.amdhsa_user_sgpr_count 6
		.amdhsa_user_sgpr_private_segment_buffer 1
		.amdhsa_user_sgpr_dispatch_ptr 0
		.amdhsa_user_sgpr_queue_ptr 0
		.amdhsa_user_sgpr_kernarg_segment_ptr 1
		.amdhsa_user_sgpr_dispatch_id 0
		.amdhsa_user_sgpr_flat_scratch_init 0
		.amdhsa_user_sgpr_kernarg_preload_length 0
		.amdhsa_user_sgpr_kernarg_preload_offset 0
		.amdhsa_user_sgpr_private_segment_size 0
		.amdhsa_uses_dynamic_stack 0
		.amdhsa_system_sgpr_private_segment_wavefront_offset 0
		.amdhsa_system_sgpr_workgroup_id_x 1
		.amdhsa_system_sgpr_workgroup_id_y 0
		.amdhsa_system_sgpr_workgroup_id_z 0
		.amdhsa_system_sgpr_workgroup_info 0
		.amdhsa_system_vgpr_workitem_id 0
		.amdhsa_next_free_vgpr 48
		.amdhsa_next_free_sgpr 22
		.amdhsa_accum_offset 48
		.amdhsa_reserve_vcc 1
		.amdhsa_reserve_flat_scratch 0
		.amdhsa_float_round_mode_32 0
		.amdhsa_float_round_mode_16_64 0
		.amdhsa_float_denorm_mode_32 3
		.amdhsa_float_denorm_mode_16_64 3
		.amdhsa_dx10_clamp 1
		.amdhsa_ieee_mode 1
		.amdhsa_fp16_overflow 0
		.amdhsa_tg_split 0
		.amdhsa_exception_fp_ieee_invalid_op 0
		.amdhsa_exception_fp_denorm_src 0
		.amdhsa_exception_fp_ieee_div_zero 0
		.amdhsa_exception_fp_ieee_overflow 0
		.amdhsa_exception_fp_ieee_underflow 0
		.amdhsa_exception_fp_ieee_inexact 0
		.amdhsa_exception_int_div_zero 0
	.end_amdhsa_kernel
	.section	.text._Z16flag_sync_kernelILi6ELi1EEvP15transfer_data_tP16profiling_data_tm,"axG",@progbits,_Z16flag_sync_kernelILi6ELi1EEvP15transfer_data_tP16profiling_data_tm,comdat
.Lfunc_end14:
	.size	_Z16flag_sync_kernelILi6ELi1EEvP15transfer_data_tP16profiling_data_tm, .Lfunc_end14-_Z16flag_sync_kernelILi6ELi1EEvP15transfer_data_tP16profiling_data_tm
                                        ; -- End function
	.section	.AMDGPU.csdata,"",@progbits
; Kernel info:
; codeLenInByte = 1644
; NumSgprs: 26
; NumVgprs: 48
; NumAgprs: 0
; TotalNumVgprs: 48
; ScratchSize: 0
; MemoryBound: 0
; FloatMode: 240
; IeeeMode: 1
; LDSByteSize: 0 bytes/workgroup (compile time only)
; SGPRBlocks: 3
; VGPRBlocks: 5
; NumSGPRsForWavesPerEU: 26
; NumVGPRsForWavesPerEU: 48
; AccumOffset: 48
; Occupancy: 8
; WaveLimiterHint : 1
; COMPUTE_PGM_RSRC2:SCRATCH_EN: 0
; COMPUTE_PGM_RSRC2:USER_SGPR: 6
; COMPUTE_PGM_RSRC2:TRAP_HANDLER: 0
; COMPUTE_PGM_RSRC2:TGID_X_EN: 1
; COMPUTE_PGM_RSRC2:TGID_Y_EN: 0
; COMPUTE_PGM_RSRC2:TGID_Z_EN: 0
; COMPUTE_PGM_RSRC2:TIDIG_COMP_CNT: 0
; COMPUTE_PGM_RSRC3_GFX90A:ACCUM_OFFSET: 11
; COMPUTE_PGM_RSRC3_GFX90A:TG_SPLIT: 0
	.text
	.p2alignl 6, 3212836864
	.fill 256, 4, 3212836864
	.type	__hip_cuid_b4084160516e42c5,@object ; @__hip_cuid_b4084160516e42c5
	.section	.bss,"aw",@nobits
	.globl	__hip_cuid_b4084160516e42c5
__hip_cuid_b4084160516e42c5:
	.byte	0                               ; 0x0
	.size	__hip_cuid_b4084160516e42c5, 1

	.ident	"AMD clang version 19.0.0git (https://github.com/RadeonOpenCompute/llvm-project roc-6.4.0 25133 c7fe45cf4b819c5991fe208aaa96edf142730f1d)"
	.section	".note.GNU-stack","",@progbits
	.addrsig
	.addrsig_sym __hip_cuid_b4084160516e42c5
	.amdgpu_metadata
---
amdhsa.kernels:
  - .agpr_count:     0
    .args:
      - .address_space:  global
        .offset:         0
        .size:           8
        .value_kind:     global_buffer
      - .offset:         8
        .size:           8
        .value_kind:     by_value
      - .offset:         16
        .size:           4
        .value_kind:     by_value
      - .offset:         24
        .size:           4
        .value_kind:     hidden_block_count_x
      - .offset:         28
        .size:           4
        .value_kind:     hidden_block_count_y
      - .offset:         32
        .size:           4
        .value_kind:     hidden_block_count_z
      - .offset:         36
        .size:           2
        .value_kind:     hidden_group_size_x
      - .offset:         38
        .size:           2
        .value_kind:     hidden_group_size_y
      - .offset:         40
        .size:           2
        .value_kind:     hidden_group_size_z
      - .offset:         42
        .size:           2
        .value_kind:     hidden_remainder_x
      - .offset:         44
        .size:           2
        .value_kind:     hidden_remainder_y
      - .offset:         46
        .size:           2
        .value_kind:     hidden_remainder_z
      - .offset:         64
        .size:           8
        .value_kind:     hidden_global_offset_x
      - .offset:         72
        .size:           8
        .value_kind:     hidden_global_offset_y
      - .offset:         80
        .size:           8
        .value_kind:     hidden_global_offset_z
      - .offset:         88
        .size:           2
        .value_kind:     hidden_grid_dims
    .group_segment_fixed_size: 0
    .kernarg_segment_align: 8
    .kernarg_segment_size: 280
    .language:       OpenCL C
    .language_version:
      - 2
      - 0
    .max_flat_workgroup_size: 1024
    .name:           _Z18initTestDataKernelPfmi
    .private_segment_fixed_size: 0
    .sgpr_count:     18
    .sgpr_spill_count: 0
    .symbol:         _Z18initTestDataKernelPfmi.kd
    .uniform_work_group_size: 1
    .uses_dynamic_stack: false
    .vgpr_count:     12
    .vgpr_spill_count: 0
    .wavefront_size: 64
  - .agpr_count:     0
    .args:
      - .address_space:  global
        .offset:         0
        .size:           8
        .value_kind:     global_buffer
      - .address_space:  global
        .offset:         8
        .size:           8
        .value_kind:     global_buffer
      - .offset:         16
        .size:           8
        .value_kind:     by_value
    .group_segment_fixed_size: 0
    .kernarg_segment_align: 8
    .kernarg_segment_size: 24
    .language:       OpenCL C
    .language_version:
      - 2
      - 0
    .max_flat_workgroup_size: 1024
    .name:           _Z16flag_sync_kernelILi0ELi0EEvP15transfer_data_tP16profiling_data_tm
    .private_segment_fixed_size: 0
    .sgpr_count:     22
    .sgpr_spill_count: 0
    .symbol:         _Z16flag_sync_kernelILi0ELi0EEvP15transfer_data_tP16profiling_data_tm.kd
    .uniform_work_group_size: 1
    .uses_dynamic_stack: false
    .vgpr_count:     48
    .vgpr_spill_count: 0
    .wavefront_size: 64
  - .agpr_count:     0
    .args:
      - .address_space:  global
        .offset:         0
        .size:           8
        .value_kind:     global_buffer
      - .address_space:  global
        .offset:         8
        .size:           8
        .value_kind:     global_buffer
      - .offset:         16
        .size:           8
        .value_kind:     by_value
    .group_segment_fixed_size: 0
    .kernarg_segment_align: 8
    .kernarg_segment_size: 24
    .language:       OpenCL C
    .language_version:
      - 2
      - 0
    .max_flat_workgroup_size: 1024
    .name:           _Z16flag_sync_kernelILi0ELi1EEvP15transfer_data_tP16profiling_data_tm
    .private_segment_fixed_size: 0
    .sgpr_count:     26
    .sgpr_spill_count: 0
    .symbol:         _Z16flag_sync_kernelILi0ELi1EEvP15transfer_data_tP16profiling_data_tm.kd
    .uniform_work_group_size: 1
    .uses_dynamic_stack: false
    .vgpr_count:     48
    .vgpr_spill_count: 0
    .wavefront_size: 64
  - .agpr_count:     0
    .args:
      - .address_space:  global
        .offset:         0
        .size:           8
        .value_kind:     global_buffer
      - .address_space:  global
        .offset:         8
        .size:           8
        .value_kind:     global_buffer
      - .offset:         16
        .size:           8
        .value_kind:     by_value
    .group_segment_fixed_size: 0
    .kernarg_segment_align: 8
    .kernarg_segment_size: 24
    .language:       OpenCL C
    .language_version:
      - 2
      - 0
    .max_flat_workgroup_size: 1024
    .name:           _Z16flag_sync_kernelILi1ELi0EEvP15transfer_data_tP16profiling_data_tm
    .private_segment_fixed_size: 0
    .sgpr_count:     22
    .sgpr_spill_count: 0
    .symbol:         _Z16flag_sync_kernelILi1ELi0EEvP15transfer_data_tP16profiling_data_tm.kd
    .uniform_work_group_size: 1
    .uses_dynamic_stack: false
    .vgpr_count:     48
    .vgpr_spill_count: 0
    .wavefront_size: 64
  - .agpr_count:     0
    .args:
      - .address_space:  global
        .offset:         0
        .size:           8
        .value_kind:     global_buffer
      - .address_space:  global
        .offset:         8
        .size:           8
        .value_kind:     global_buffer
      - .offset:         16
        .size:           8
        .value_kind:     by_value
    .group_segment_fixed_size: 0
    .kernarg_segment_align: 8
    .kernarg_segment_size: 24
    .language:       OpenCL C
    .language_version:
      - 2
      - 0
    .max_flat_workgroup_size: 1024
    .name:           _Z16flag_sync_kernelILi1ELi1EEvP15transfer_data_tP16profiling_data_tm
    .private_segment_fixed_size: 0
    .sgpr_count:     26
    .sgpr_spill_count: 0
    .symbol:         _Z16flag_sync_kernelILi1ELi1EEvP15transfer_data_tP16profiling_data_tm.kd
    .uniform_work_group_size: 1
    .uses_dynamic_stack: false
    .vgpr_count:     48
    .vgpr_spill_count: 0
    .wavefront_size: 64
  - .agpr_count:     0
    .args:
      - .address_space:  global
        .offset:         0
        .size:           8
        .value_kind:     global_buffer
      - .address_space:  global
        .offset:         8
        .size:           8
        .value_kind:     global_buffer
      - .offset:         16
        .size:           8
        .value_kind:     by_value
    .group_segment_fixed_size: 0
    .kernarg_segment_align: 8
    .kernarg_segment_size: 24
    .language:       OpenCL C
    .language_version:
      - 2
      - 0
    .max_flat_workgroup_size: 1024
    .name:           _Z16flag_sync_kernelILi2ELi0EEvP15transfer_data_tP16profiling_data_tm
    .private_segment_fixed_size: 0
    .sgpr_count:     22
    .sgpr_spill_count: 0
    .symbol:         _Z16flag_sync_kernelILi2ELi0EEvP15transfer_data_tP16profiling_data_tm.kd
    .uniform_work_group_size: 1
    .uses_dynamic_stack: false
    .vgpr_count:     32
    .vgpr_spill_count: 0
    .wavefront_size: 64
  - .agpr_count:     0
    .args:
      - .address_space:  global
        .offset:         0
        .size:           8
        .value_kind:     global_buffer
      - .address_space:  global
        .offset:         8
        .size:           8
        .value_kind:     global_buffer
      - .offset:         16
        .size:           8
        .value_kind:     by_value
    .group_segment_fixed_size: 0
    .kernarg_segment_align: 8
    .kernarg_segment_size: 24
    .language:       OpenCL C
    .language_version:
      - 2
      - 0
    .max_flat_workgroup_size: 1024
    .name:           _Z16flag_sync_kernelILi2ELi1EEvP15transfer_data_tP16profiling_data_tm
    .private_segment_fixed_size: 0
    .sgpr_count:     26
    .sgpr_spill_count: 0
    .symbol:         _Z16flag_sync_kernelILi2ELi1EEvP15transfer_data_tP16profiling_data_tm.kd
    .uniform_work_group_size: 1
    .uses_dynamic_stack: false
    .vgpr_count:     32
    .vgpr_spill_count: 0
    .wavefront_size: 64
  - .agpr_count:     0
    .args:
      - .address_space:  global
        .offset:         0
        .size:           8
        .value_kind:     global_buffer
      - .address_space:  global
        .offset:         8
        .size:           8
        .value_kind:     global_buffer
      - .offset:         16
        .size:           8
        .value_kind:     by_value
    .group_segment_fixed_size: 0
    .kernarg_segment_align: 8
    .kernarg_segment_size: 24
    .language:       OpenCL C
    .language_version:
      - 2
      - 0
    .max_flat_workgroup_size: 1024
    .name:           _Z16flag_sync_kernelILi3ELi0EEvP15transfer_data_tP16profiling_data_tm
    .private_segment_fixed_size: 0
    .sgpr_count:     22
    .sgpr_spill_count: 0
    .symbol:         _Z16flag_sync_kernelILi3ELi0EEvP15transfer_data_tP16profiling_data_tm.kd
    .uniform_work_group_size: 1
    .uses_dynamic_stack: false
    .vgpr_count:     32
    .vgpr_spill_count: 0
    .wavefront_size: 64
  - .agpr_count:     0
    .args:
      - .address_space:  global
        .offset:         0
        .size:           8
        .value_kind:     global_buffer
      - .address_space:  global
        .offset:         8
        .size:           8
        .value_kind:     global_buffer
      - .offset:         16
        .size:           8
        .value_kind:     by_value
    .group_segment_fixed_size: 0
    .kernarg_segment_align: 8
    .kernarg_segment_size: 24
    .language:       OpenCL C
    .language_version:
      - 2
      - 0
    .max_flat_workgroup_size: 1024
    .name:           _Z16flag_sync_kernelILi3ELi1EEvP15transfer_data_tP16profiling_data_tm
    .private_segment_fixed_size: 0
    .sgpr_count:     26
    .sgpr_spill_count: 0
    .symbol:         _Z16flag_sync_kernelILi3ELi1EEvP15transfer_data_tP16profiling_data_tm.kd
    .uniform_work_group_size: 1
    .uses_dynamic_stack: false
    .vgpr_count:     32
    .vgpr_spill_count: 0
    .wavefront_size: 64
  - .agpr_count:     0
    .args:
      - .address_space:  global
        .offset:         0
        .size:           8
        .value_kind:     global_buffer
      - .address_space:  global
        .offset:         8
        .size:           8
        .value_kind:     global_buffer
      - .offset:         16
        .size:           8
        .value_kind:     by_value
    .group_segment_fixed_size: 0
    .kernarg_segment_align: 8
    .kernarg_segment_size: 24
    .language:       OpenCL C
    .language_version:
      - 2
      - 0
    .max_flat_workgroup_size: 1024
    .name:           _Z16flag_sync_kernelILi4ELi0EEvP15transfer_data_tP16profiling_data_tm
    .private_segment_fixed_size: 0
    .sgpr_count:     23
    .sgpr_spill_count: 0
    .symbol:         _Z16flag_sync_kernelILi4ELi0EEvP15transfer_data_tP16profiling_data_tm.kd
    .uniform_work_group_size: 1
    .uses_dynamic_stack: false
    .vgpr_count:     48
    .vgpr_spill_count: 0
    .wavefront_size: 64
  - .agpr_count:     0
    .args:
      - .address_space:  global
        .offset:         0
        .size:           8
        .value_kind:     global_buffer
      - .address_space:  global
        .offset:         8
        .size:           8
        .value_kind:     global_buffer
      - .offset:         16
        .size:           8
        .value_kind:     by_value
    .group_segment_fixed_size: 0
    .kernarg_segment_align: 8
    .kernarg_segment_size: 24
    .language:       OpenCL C
    .language_version:
      - 2
      - 0
    .max_flat_workgroup_size: 1024
    .name:           _Z16flag_sync_kernelILi4ELi1EEvP15transfer_data_tP16profiling_data_tm
    .private_segment_fixed_size: 0
    .sgpr_count:     26
    .sgpr_spill_count: 0
    .symbol:         _Z16flag_sync_kernelILi4ELi1EEvP15transfer_data_tP16profiling_data_tm.kd
    .uniform_work_group_size: 1
    .uses_dynamic_stack: false
    .vgpr_count:     48
    .vgpr_spill_count: 0
    .wavefront_size: 64
  - .agpr_count:     0
    .args:
      - .address_space:  global
        .offset:         0
        .size:           8
        .value_kind:     global_buffer
      - .address_space:  global
        .offset:         8
        .size:           8
        .value_kind:     global_buffer
      - .offset:         16
        .size:           8
        .value_kind:     by_value
    .group_segment_fixed_size: 0
    .kernarg_segment_align: 8
    .kernarg_segment_size: 24
    .language:       OpenCL C
    .language_version:
      - 2
      - 0
    .max_flat_workgroup_size: 1024
    .name:           _Z16flag_sync_kernelILi5ELi0EEvP15transfer_data_tP16profiling_data_tm
    .private_segment_fixed_size: 0
    .sgpr_count:     23
    .sgpr_spill_count: 0
    .symbol:         _Z16flag_sync_kernelILi5ELi0EEvP15transfer_data_tP16profiling_data_tm.kd
    .uniform_work_group_size: 1
    .uses_dynamic_stack: false
    .vgpr_count:     52
    .vgpr_spill_count: 0
    .wavefront_size: 64
  - .agpr_count:     0
    .args:
      - .address_space:  global
        .offset:         0
        .size:           8
        .value_kind:     global_buffer
      - .address_space:  global
        .offset:         8
        .size:           8
        .value_kind:     global_buffer
      - .offset:         16
        .size:           8
        .value_kind:     by_value
    .group_segment_fixed_size: 0
    .kernarg_segment_align: 8
    .kernarg_segment_size: 24
    .language:       OpenCL C
    .language_version:
      - 2
      - 0
    .max_flat_workgroup_size: 1024
    .name:           _Z16flag_sync_kernelILi5ELi1EEvP15transfer_data_tP16profiling_data_tm
    .private_segment_fixed_size: 0
    .sgpr_count:     26
    .sgpr_spill_count: 0
    .symbol:         _Z16flag_sync_kernelILi5ELi1EEvP15transfer_data_tP16profiling_data_tm.kd
    .uniform_work_group_size: 1
    .uses_dynamic_stack: false
    .vgpr_count:     52
    .vgpr_spill_count: 0
    .wavefront_size: 64
  - .agpr_count:     0
    .args:
      - .address_space:  global
        .offset:         0
        .size:           8
        .value_kind:     global_buffer
      - .address_space:  global
        .offset:         8
        .size:           8
        .value_kind:     global_buffer
      - .offset:         16
        .size:           8
        .value_kind:     by_value
    .group_segment_fixed_size: 0
    .kernarg_segment_align: 8
    .kernarg_segment_size: 24
    .language:       OpenCL C
    .language_version:
      - 2
      - 0
    .max_flat_workgroup_size: 1024
    .name:           _Z16flag_sync_kernelILi6ELi0EEvP15transfer_data_tP16profiling_data_tm
    .private_segment_fixed_size: 0
    .sgpr_count:     22
    .sgpr_spill_count: 0
    .symbol:         _Z16flag_sync_kernelILi6ELi0EEvP15transfer_data_tP16profiling_data_tm.kd
    .uniform_work_group_size: 1
    .uses_dynamic_stack: false
    .vgpr_count:     48
    .vgpr_spill_count: 0
    .wavefront_size: 64
  - .agpr_count:     0
    .args:
      - .address_space:  global
        .offset:         0
        .size:           8
        .value_kind:     global_buffer
      - .address_space:  global
        .offset:         8
        .size:           8
        .value_kind:     global_buffer
      - .offset:         16
        .size:           8
        .value_kind:     by_value
    .group_segment_fixed_size: 0
    .kernarg_segment_align: 8
    .kernarg_segment_size: 24
    .language:       OpenCL C
    .language_version:
      - 2
      - 0
    .max_flat_workgroup_size: 1024
    .name:           _Z16flag_sync_kernelILi6ELi1EEvP15transfer_data_tP16profiling_data_tm
    .private_segment_fixed_size: 0
    .sgpr_count:     26
    .sgpr_spill_count: 0
    .symbol:         _Z16flag_sync_kernelILi6ELi1EEvP15transfer_data_tP16profiling_data_tm.kd
    .uniform_work_group_size: 1
    .uses_dynamic_stack: false
    .vgpr_count:     48
    .vgpr_spill_count: 0
    .wavefront_size: 64
amdhsa.target:   amdgcn-amd-amdhsa--gfx90a
amdhsa.version:
  - 1
  - 2
...

	.end_amdgpu_metadata
